;; amdgpu-corpus repo=ROCm/rocFFT kind=compiled arch=gfx906 opt=O3
	.text
	.amdgcn_target "amdgcn-amd-amdhsa--gfx906"
	.amdhsa_code_object_version 6
	.protected	fft_rtc_back_len1155_factors_11_5_7_3_wgs_55_tpt_55_halfLds_dp_ip_CI_unitstride_sbrr_dirReg ; -- Begin function fft_rtc_back_len1155_factors_11_5_7_3_wgs_55_tpt_55_halfLds_dp_ip_CI_unitstride_sbrr_dirReg
	.globl	fft_rtc_back_len1155_factors_11_5_7_3_wgs_55_tpt_55_halfLds_dp_ip_CI_unitstride_sbrr_dirReg
	.p2align	8
	.type	fft_rtc_back_len1155_factors_11_5_7_3_wgs_55_tpt_55_halfLds_dp_ip_CI_unitstride_sbrr_dirReg,@function
fft_rtc_back_len1155_factors_11_5_7_3_wgs_55_tpt_55_halfLds_dp_ip_CI_unitstride_sbrr_dirReg: ; @fft_rtc_back_len1155_factors_11_5_7_3_wgs_55_tpt_55_halfLds_dp_ip_CI_unitstride_sbrr_dirReg
; %bb.0:
	s_load_dwordx2 s[12:13], s[4:5], 0x50
	s_load_dwordx4 s[8:11], s[4:5], 0x0
	s_load_dwordx2 s[2:3], s[4:5], 0x18
	v_mul_u32_u24_e32 v1, 0x4a8, v0
	v_add_u32_sdwa v5, s6, v1 dst_sel:DWORD dst_unused:UNUSED_PAD src0_sel:DWORD src1_sel:WORD_1
	v_mov_b32_e32 v3, 0
	s_waitcnt lgkmcnt(0)
	v_cmp_lt_u64_e64 s[0:1], s[10:11], 2
	v_mov_b32_e32 v1, 0
	v_mov_b32_e32 v6, v3
	s_and_b64 vcc, exec, s[0:1]
	v_mov_b32_e32 v2, 0
	s_cbranch_vccnz .LBB0_8
; %bb.1:
	s_load_dwordx2 s[0:1], s[4:5], 0x10
	s_add_u32 s6, s2, 8
	s_addc_u32 s7, s3, 0
	v_mov_b32_e32 v1, 0
	v_mov_b32_e32 v2, 0
	s_waitcnt lgkmcnt(0)
	s_add_u32 s14, s0, 8
	s_addc_u32 s15, s1, 0
	s_mov_b64 s[16:17], 1
.LBB0_2:                                ; =>This Inner Loop Header: Depth=1
	s_load_dwordx2 s[18:19], s[14:15], 0x0
                                        ; implicit-def: $vgpr7_vgpr8
	s_waitcnt lgkmcnt(0)
	v_or_b32_e32 v4, s19, v6
	v_cmp_ne_u64_e32 vcc, 0, v[3:4]
	s_and_saveexec_b64 s[0:1], vcc
	s_xor_b64 s[20:21], exec, s[0:1]
	s_cbranch_execz .LBB0_4
; %bb.3:                                ;   in Loop: Header=BB0_2 Depth=1
	v_cvt_f32_u32_e32 v4, s18
	v_cvt_f32_u32_e32 v7, s19
	s_sub_u32 s0, 0, s18
	s_subb_u32 s1, 0, s19
	v_mac_f32_e32 v4, 0x4f800000, v7
	v_rcp_f32_e32 v4, v4
	v_mul_f32_e32 v4, 0x5f7ffffc, v4
	v_mul_f32_e32 v7, 0x2f800000, v4
	v_trunc_f32_e32 v7, v7
	v_mac_f32_e32 v4, 0xcf800000, v7
	v_cvt_u32_f32_e32 v7, v7
	v_cvt_u32_f32_e32 v4, v4
	v_mul_lo_u32 v8, s0, v7
	v_mul_hi_u32 v9, s0, v4
	v_mul_lo_u32 v11, s1, v4
	v_mul_lo_u32 v10, s0, v4
	v_add_u32_e32 v8, v9, v8
	v_add_u32_e32 v8, v8, v11
	v_mul_hi_u32 v9, v4, v10
	v_mul_lo_u32 v11, v4, v8
	v_mul_hi_u32 v13, v4, v8
	v_mul_hi_u32 v12, v7, v10
	v_mul_lo_u32 v10, v7, v10
	v_mul_hi_u32 v14, v7, v8
	v_add_co_u32_e32 v9, vcc, v9, v11
	v_addc_co_u32_e32 v11, vcc, 0, v13, vcc
	v_mul_lo_u32 v8, v7, v8
	v_add_co_u32_e32 v9, vcc, v9, v10
	v_addc_co_u32_e32 v9, vcc, v11, v12, vcc
	v_addc_co_u32_e32 v10, vcc, 0, v14, vcc
	v_add_co_u32_e32 v8, vcc, v9, v8
	v_addc_co_u32_e32 v9, vcc, 0, v10, vcc
	v_add_co_u32_e32 v4, vcc, v4, v8
	v_addc_co_u32_e32 v7, vcc, v7, v9, vcc
	v_mul_lo_u32 v8, s0, v7
	v_mul_hi_u32 v9, s0, v4
	v_mul_lo_u32 v10, s1, v4
	v_mul_lo_u32 v11, s0, v4
	v_add_u32_e32 v8, v9, v8
	v_add_u32_e32 v8, v8, v10
	v_mul_lo_u32 v12, v4, v8
	v_mul_hi_u32 v13, v4, v11
	v_mul_hi_u32 v14, v4, v8
	;; [unrolled: 1-line block ×3, first 2 shown]
	v_mul_lo_u32 v11, v7, v11
	v_mul_hi_u32 v9, v7, v8
	v_add_co_u32_e32 v12, vcc, v13, v12
	v_addc_co_u32_e32 v13, vcc, 0, v14, vcc
	v_mul_lo_u32 v8, v7, v8
	v_add_co_u32_e32 v11, vcc, v12, v11
	v_addc_co_u32_e32 v10, vcc, v13, v10, vcc
	v_addc_co_u32_e32 v9, vcc, 0, v9, vcc
	v_add_co_u32_e32 v8, vcc, v10, v8
	v_addc_co_u32_e32 v9, vcc, 0, v9, vcc
	v_add_co_u32_e32 v4, vcc, v4, v8
	v_addc_co_u32_e32 v9, vcc, v7, v9, vcc
	v_mad_u64_u32 v[7:8], s[0:1], v5, v9, 0
	v_mul_hi_u32 v10, v5, v4
	v_add_co_u32_e32 v11, vcc, v10, v7
	v_addc_co_u32_e32 v12, vcc, 0, v8, vcc
	v_mad_u64_u32 v[7:8], s[0:1], v6, v4, 0
	v_mad_u64_u32 v[9:10], s[0:1], v6, v9, 0
	v_add_co_u32_e32 v4, vcc, v11, v7
	v_addc_co_u32_e32 v4, vcc, v12, v8, vcc
	v_addc_co_u32_e32 v7, vcc, 0, v10, vcc
	v_add_co_u32_e32 v4, vcc, v4, v9
	v_addc_co_u32_e32 v9, vcc, 0, v7, vcc
	v_mul_lo_u32 v10, s19, v4
	v_mul_lo_u32 v11, s18, v9
	v_mad_u64_u32 v[7:8], s[0:1], s18, v4, 0
	v_add3_u32 v8, v8, v11, v10
	v_sub_u32_e32 v10, v6, v8
	v_mov_b32_e32 v11, s19
	v_sub_co_u32_e32 v7, vcc, v5, v7
	v_subb_co_u32_e64 v10, s[0:1], v10, v11, vcc
	v_subrev_co_u32_e64 v11, s[0:1], s18, v7
	v_subbrev_co_u32_e64 v10, s[0:1], 0, v10, s[0:1]
	v_cmp_le_u32_e64 s[0:1], s19, v10
	v_cndmask_b32_e64 v12, 0, -1, s[0:1]
	v_cmp_le_u32_e64 s[0:1], s18, v11
	v_cndmask_b32_e64 v11, 0, -1, s[0:1]
	v_cmp_eq_u32_e64 s[0:1], s19, v10
	v_cndmask_b32_e64 v10, v12, v11, s[0:1]
	v_add_co_u32_e64 v11, s[0:1], 2, v4
	v_addc_co_u32_e64 v12, s[0:1], 0, v9, s[0:1]
	v_add_co_u32_e64 v13, s[0:1], 1, v4
	v_addc_co_u32_e64 v14, s[0:1], 0, v9, s[0:1]
	v_subb_co_u32_e32 v8, vcc, v6, v8, vcc
	v_cmp_ne_u32_e64 s[0:1], 0, v10
	v_cmp_le_u32_e32 vcc, s19, v8
	v_cndmask_b32_e64 v10, v14, v12, s[0:1]
	v_cndmask_b32_e64 v12, 0, -1, vcc
	v_cmp_le_u32_e32 vcc, s18, v7
	v_cndmask_b32_e64 v7, 0, -1, vcc
	v_cmp_eq_u32_e32 vcc, s19, v8
	v_cndmask_b32_e32 v7, v12, v7, vcc
	v_cmp_ne_u32_e32 vcc, 0, v7
	v_cndmask_b32_e64 v7, v13, v11, s[0:1]
	v_cndmask_b32_e32 v8, v9, v10, vcc
	v_cndmask_b32_e32 v7, v4, v7, vcc
.LBB0_4:                                ;   in Loop: Header=BB0_2 Depth=1
	s_andn2_saveexec_b64 s[0:1], s[20:21]
	s_cbranch_execz .LBB0_6
; %bb.5:                                ;   in Loop: Header=BB0_2 Depth=1
	v_cvt_f32_u32_e32 v4, s18
	s_sub_i32 s20, 0, s18
	v_rcp_iflag_f32_e32 v4, v4
	v_mul_f32_e32 v4, 0x4f7ffffe, v4
	v_cvt_u32_f32_e32 v4, v4
	v_mul_lo_u32 v7, s20, v4
	v_mul_hi_u32 v7, v4, v7
	v_add_u32_e32 v4, v4, v7
	v_mul_hi_u32 v4, v5, v4
	v_mul_lo_u32 v7, v4, s18
	v_add_u32_e32 v8, 1, v4
	v_sub_u32_e32 v7, v5, v7
	v_subrev_u32_e32 v9, s18, v7
	v_cmp_le_u32_e32 vcc, s18, v7
	v_cndmask_b32_e32 v7, v7, v9, vcc
	v_cndmask_b32_e32 v4, v4, v8, vcc
	v_add_u32_e32 v8, 1, v4
	v_cmp_le_u32_e32 vcc, s18, v7
	v_cndmask_b32_e32 v7, v4, v8, vcc
	v_mov_b32_e32 v8, v3
.LBB0_6:                                ;   in Loop: Header=BB0_2 Depth=1
	s_or_b64 exec, exec, s[0:1]
	v_mul_lo_u32 v4, v8, s18
	v_mul_lo_u32 v11, v7, s19
	v_mad_u64_u32 v[9:10], s[0:1], v7, s18, 0
	s_load_dwordx2 s[0:1], s[6:7], 0x0
	s_add_u32 s16, s16, 1
	v_add3_u32 v4, v10, v11, v4
	v_sub_co_u32_e32 v5, vcc, v5, v9
	v_subb_co_u32_e32 v4, vcc, v6, v4, vcc
	s_waitcnt lgkmcnt(0)
	v_mul_lo_u32 v4, s0, v4
	v_mul_lo_u32 v6, s1, v5
	v_mad_u64_u32 v[1:2], s[0:1], s0, v5, v[1:2]
	s_addc_u32 s17, s17, 0
	s_add_u32 s6, s6, 8
	v_add3_u32 v2, v6, v2, v4
	v_mov_b32_e32 v4, s10
	v_mov_b32_e32 v5, s11
	s_addc_u32 s7, s7, 0
	v_cmp_ge_u64_e32 vcc, s[16:17], v[4:5]
	s_add_u32 s14, s14, 8
	s_addc_u32 s15, s15, 0
	s_cbranch_vccnz .LBB0_9
; %bb.7:                                ;   in Loop: Header=BB0_2 Depth=1
	v_mov_b32_e32 v5, v7
	v_mov_b32_e32 v6, v8
	s_branch .LBB0_2
.LBB0_8:
	v_mov_b32_e32 v8, v6
	v_mov_b32_e32 v7, v5
.LBB0_9:
	s_lshl_b64 s[0:1], s[10:11], 3
	s_add_u32 s0, s2, s0
	s_addc_u32 s1, s3, s1
	s_load_dwordx2 s[2:3], s[0:1], 0x0
	s_load_dwordx2 s[6:7], s[4:5], 0x20
                                        ; implicit-def: $vgpr30_vgpr31
                                        ; implicit-def: $vgpr26_vgpr27
                                        ; implicit-def: $vgpr22_vgpr23
                                        ; implicit-def: $vgpr18_vgpr19
                                        ; implicit-def: $vgpr14_vgpr15
                                        ; implicit-def: $vgpr10_vgpr11
                                        ; implicit-def: $vgpr34_vgpr35
                                        ; implicit-def: $vgpr42_vgpr43
                                        ; implicit-def: $vgpr38_vgpr39
                                        ; implicit-def: $vgpr74_vgpr75
                                        ; implicit-def: $vgpr78_vgpr79
                                        ; implicit-def: $vgpr70_vgpr71
                                        ; implicit-def: $vgpr62_vgpr63
                                        ; implicit-def: $vgpr50_vgpr51
                                        ; implicit-def: $vgpr46_vgpr47
                                        ; implicit-def: $vgpr54_vgpr55
                                        ; implicit-def: $vgpr58_vgpr59
                                        ; implicit-def: $vgpr82_vgpr83
                                        ; implicit-def: $vgpr86_vgpr87
                                        ; implicit-def: $vgpr66_vgpr67
	s_waitcnt lgkmcnt(0)
	v_mad_u64_u32 v[1:2], s[0:1], s2, v7, v[1:2]
	v_mul_lo_u32 v3, s2, v8
	v_mul_lo_u32 v4, s3, v7
	s_mov_b32 s0, 0x4a7904b
	v_mul_hi_u32 v5, v0, s0
	v_cmp_gt_u64_e64 s[0:1], s[6:7], v[7:8]
	v_add3_u32 v2, v4, v2, v3
	v_lshlrev_b64 v[138:139], 4, v[1:2]
	v_mul_u32_u24_e32 v3, 55, v5
	v_sub_u32_e32 v136, v0, v3
                                        ; implicit-def: $vgpr6_vgpr7
                                        ; implicit-def: $vgpr2_vgpr3
	s_and_saveexec_b64 s[2:3], s[0:1]
	s_cbranch_execz .LBB0_13
; %bb.10:
	v_mov_b32_e32 v137, 0
	v_mov_b32_e32 v0, s13
	v_add_co_u32_e32 v2, vcc, s12, v138
	v_addc_co_u32_e32 v3, vcc, v0, v139, vcc
	v_lshlrev_b64 v[0:1], 4, v[136:137]
	s_movk_i32 s4, 0x1000
	v_add_co_u32_e32 v30, vcc, v2, v0
	v_addc_co_u32_e32 v31, vcc, v3, v1, vcc
	v_add_co_u32_e32 v88, vcc, s4, v30
	v_addc_co_u32_e32 v89, vcc, 0, v31, vcc
	s_movk_i32 s4, 0x2000
	v_add_co_u32_e32 v90, vcc, s4, v30
	v_addc_co_u32_e32 v91, vcc, 0, v31, vcc
	s_movk_i32 s4, 0x3000
	v_add_co_u32_e32 v92, vcc, s4, v30
	v_addc_co_u32_e32 v93, vcc, 0, v31, vcc
	v_add_co_u32_e32 v0, vcc, 0x4000, v30
	v_addc_co_u32_e32 v1, vcc, 0, v31, vcc
	global_load_dwordx4 v[64:67], v[30:31], off
	global_load_dwordx4 v[84:87], v[30:31], off offset:1680
	global_load_dwordx4 v[80:83], v[30:31], off offset:3360
	;; [unrolled: 1-line block ×10, first 2 shown]
	v_cmp_gt_u32_e32 vcc, 50, v136
                                        ; implicit-def: $vgpr0_vgpr1
                                        ; implicit-def: $vgpr36_vgpr37
                                        ; implicit-def: $vgpr40_vgpr41
                                        ; implicit-def: $vgpr32_vgpr33
                                        ; implicit-def: $vgpr4_vgpr5
                                        ; implicit-def: $vgpr8_vgpr9
                                        ; implicit-def: $vgpr12_vgpr13
                                        ; implicit-def: $vgpr16_vgpr17
                                        ; implicit-def: $vgpr20_vgpr21
                                        ; implicit-def: $vgpr24_vgpr25
                                        ; implicit-def: $vgpr28_vgpr29
	s_and_saveexec_b64 s[4:5], vcc
	s_cbranch_execz .LBB0_12
; %bb.11:
	global_load_dwordx4 v[0:3], v[30:31], off offset:880
	global_load_dwordx4 v[36:39], v[30:31], off offset:2560
	global_load_dwordx4 v[40:43], v[88:89], off offset:144
	global_load_dwordx4 v[32:35], v[88:89], off offset:1824
	global_load_dwordx4 v[4:7], v[88:89], off offset:3504
	global_load_dwordx4 v[8:11], v[90:91], off offset:1088
	global_load_dwordx4 v[12:15], v[90:91], off offset:2768
	global_load_dwordx4 v[16:19], v[92:93], off offset:352
	global_load_dwordx4 v[20:23], v[92:93], off offset:2032
	global_load_dwordx4 v[24:27], v[92:93], off offset:3712
	v_add_co_u32_e32 v28, vcc, 0x4000, v30
	v_addc_co_u32_e32 v29, vcc, 0, v31, vcc
	global_load_dwordx4 v[28:31], v[28:29], off offset:1296
.LBB0_12:
	s_or_b64 exec, exec, s[4:5]
.LBB0_13:
	s_or_b64 exec, exec, s[2:3]
	s_waitcnt vmcnt(4)
	v_add_f64 v[88:89], v[86:87], -v[74:75]
	s_mov_b32 s4, 0xf8bb580b
	s_mov_b32 s5, 0xbfe14ced
	v_add_f64 v[90:91], v[72:73], v[84:85]
	s_waitcnt vmcnt(0)
	v_add_f64 v[106:107], v[82:83], -v[78:79]
	s_mov_b32 s16, 0x8764f0ba
	s_mov_b32 s10, 0x8eee2c13
	;; [unrolled: 1-line block ×3, first 2 shown]
	v_mul_f64 v[92:93], v[88:89], s[4:5]
	s_mov_b32 s17, 0x3feaeb8c
	s_mov_b32 s11, 0xbfed1bb4
	;; [unrolled: 1-line block ×3, first 2 shown]
	v_mul_f64 v[94:95], v[88:89], s[10:11]
	v_mul_f64 v[98:99], v[88:89], s[14:15]
	v_add_f64 v[110:111], v[76:77], v[80:81]
	v_mul_f64 v[112:113], v[106:107], s[10:11]
	v_fma_f64 v[96:97], v[90:91], s[16:17], v[92:93]
	v_fma_f64 v[92:93], v[90:91], s[16:17], -v[92:93]
	s_mov_b32 s18, 0xd9c712b6
	s_mov_b32 s6, 0xbb3a28a1
	;; [unrolled: 1-line block ×10, first 2 shown]
	v_mul_f64 v[100:101], v[88:89], s[6:7]
	v_fma_f64 v[102:103], v[90:91], s[18:19], v[94:95]
	v_fma_f64 v[94:95], v[90:91], s[18:19], -v[94:95]
	v_add_f64 v[96:97], v[64:65], v[96:97]
	v_add_f64 v[92:93], v[64:65], v[92:93]
	v_fma_f64 v[104:105], v[90:91], s[20:21], v[98:99]
	v_fma_f64 v[98:99], v[90:91], s[20:21], -v[98:99]
	v_mul_f64 v[88:89], v[88:89], s[24:25]
	v_fma_f64 v[114:115], v[110:111], s[18:19], v[112:113]
	v_fma_f64 v[112:113], v[110:111], s[18:19], -v[112:113]
	v_mul_f64 v[116:117], v[106:107], s[6:7]
	v_mul_f64 v[118:119], v[106:107], s[26:27]
	s_mov_b32 s22, 0x7f775887
	s_mov_b32 s30, 0x9bcd5057
	;; [unrolled: 1-line block ×6, first 2 shown]
	v_fma_f64 v[108:109], v[90:91], s[22:23], v[100:101]
	v_fma_f64 v[100:101], v[90:91], s[22:23], -v[100:101]
	v_add_f64 v[102:103], v[64:65], v[102:103]
	v_add_f64 v[94:95], v[64:65], v[94:95]
	v_add_f64 v[104:105], v[64:65], v[104:105]
	v_add_f64 v[98:99], v[64:65], v[98:99]
	v_fma_f64 v[120:121], v[90:91], s[30:31], v[88:89]
	v_fma_f64 v[88:89], v[90:91], s[30:31], -v[88:89]
	v_add_f64 v[90:91], v[114:115], v[96:97]
	v_add_f64 v[92:93], v[112:113], v[92:93]
	v_fma_f64 v[96:97], v[110:111], s[22:23], v[116:117]
	v_fma_f64 v[112:113], v[110:111], s[22:23], -v[116:117]
	v_fma_f64 v[114:115], v[110:111], s[30:31], v[118:119]
	v_fma_f64 v[116:117], v[110:111], s[30:31], -v[118:119]
	v_mul_f64 v[118:119], v[106:107], s[28:29]
	v_add_f64 v[122:123], v[58:59], -v[70:71]
	s_mov_b32 s35, 0x3fe14ced
	s_mov_b32 s34, s4
	v_add_f64 v[108:109], v[64:65], v[108:109]
	v_add_f64 v[100:101], v[64:65], v[100:101]
	v_mul_f64 v[106:107], v[106:107], s[34:35]
	v_add_f64 v[96:97], v[96:97], v[102:103]
	v_add_f64 v[94:95], v[112:113], v[94:95]
	;; [unrolled: 1-line block ×4, first 2 shown]
	v_fma_f64 v[104:105], v[110:111], s[20:21], v[118:119]
	v_fma_f64 v[112:113], v[110:111], s[20:21], -v[118:119]
	v_add_f64 v[114:115], v[68:69], v[56:57]
	v_mul_f64 v[116:117], v[122:123], s[14:15]
	s_mov_b32 s37, 0x3fed1bb4
	s_mov_b32 s36, s10
	v_fma_f64 v[118:119], v[110:111], s[16:17], v[106:107]
	v_fma_f64 v[106:107], v[110:111], s[16:17], -v[106:107]
	v_add_f64 v[110:111], v[64:65], v[120:121]
	v_add_f64 v[88:89], v[64:65], v[88:89]
	v_mul_f64 v[120:121], v[122:123], s[26:27]
	v_add_f64 v[104:105], v[104:105], v[108:109]
	v_add_f64 v[100:101], v[112:113], v[100:101]
	v_fma_f64 v[108:109], v[114:115], s[20:21], v[116:117]
	v_fma_f64 v[112:113], v[114:115], s[20:21], -v[116:117]
	v_mul_f64 v[116:117], v[122:123], s[36:37]
	v_add_f64 v[110:111], v[118:119], v[110:111]
	v_add_f64 v[88:89], v[106:107], v[88:89]
	v_fma_f64 v[124:125], v[114:115], s[30:31], v[120:121]
	v_mul_f64 v[106:107], v[122:123], s[4:5]
	v_add_f64 v[118:119], v[54:55], -v[62:63]
	v_add_f64 v[90:91], v[108:109], v[90:91]
	v_fma_f64 v[108:109], v[114:115], s[30:31], -v[120:121]
	v_add_f64 v[92:93], v[112:113], v[92:93]
	v_fma_f64 v[112:113], v[114:115], s[18:19], v[116:117]
	v_fma_f64 v[116:117], v[114:115], s[18:19], -v[116:117]
	v_mul_f64 v[122:123], v[122:123], s[6:7]
	v_add_f64 v[96:97], v[124:125], v[96:97]
	v_fma_f64 v[120:121], v[114:115], s[16:17], v[106:107]
	v_fma_f64 v[106:107], v[114:115], s[16:17], -v[106:107]
	v_add_f64 v[94:95], v[108:109], v[94:95]
	v_add_f64 v[108:109], v[60:61], v[52:53]
	;; [unrolled: 1-line block ×3, first 2 shown]
	v_mul_f64 v[112:113], v[118:119], s[6:7]
	v_add_f64 v[98:99], v[116:117], v[98:99]
	v_fma_f64 v[116:117], v[114:115], s[22:23], v[122:123]
	v_mul_f64 v[124:125], v[118:119], s[28:29]
	v_add_f64 v[64:65], v[84:85], v[64:65]
	v_fma_f64 v[114:115], v[114:115], s[22:23], -v[122:123]
	v_add_f64 v[100:101], v[106:107], v[100:101]
	v_add_f64 v[104:105], v[120:121], v[104:105]
	v_fma_f64 v[106:107], v[108:109], s[22:23], v[112:113]
	v_fma_f64 v[112:113], v[108:109], s[22:23], -v[112:113]
	v_add_f64 v[110:111], v[116:117], v[110:111]
	v_fma_f64 v[116:117], v[108:109], s[20:21], v[124:125]
	v_add_f64 v[64:65], v[80:81], v[64:65]
	v_add_f64 v[114:115], v[114:115], v[88:89]
	v_mul_f64 v[88:89], v[118:119], s[4:5]
	v_fma_f64 v[120:121], v[108:109], s[20:21], -v[124:125]
	v_add_f64 v[90:91], v[106:107], v[90:91]
	v_add_f64 v[106:107], v[112:113], v[92:93]
	v_mul_f64 v[92:93], v[118:119], s[24:25]
	v_add_f64 v[112:113], v[116:117], v[96:97]
	v_add_f64 v[116:117], v[46:47], -v[50:51]
	v_add_f64 v[64:65], v[56:57], v[64:65]
	v_fma_f64 v[96:97], v[108:109], s[16:17], v[88:89]
	v_add_f64 v[120:121], v[120:121], v[94:95]
	v_fma_f64 v[88:89], v[108:109], s[16:17], -v[88:89]
	v_mul_f64 v[94:95], v[118:119], s[36:37]
	v_add_f64 v[130:131], v[48:49], v[44:45]
	v_fma_f64 v[118:119], v[108:109], s[30:31], v[92:93]
	v_mul_f64 v[122:123], v[116:117], s[24:25]
	v_add_f64 v[64:65], v[52:53], v[64:65]
	v_fma_f64 v[92:93], v[108:109], s[30:31], -v[92:93]
	v_add_f64 v[124:125], v[96:97], v[102:103]
	v_add_f64 v[132:133], v[88:89], v[98:99]
	v_fma_f64 v[96:97], v[108:109], s[18:19], v[94:95]
	v_fma_f64 v[94:95], v[108:109], s[18:19], -v[94:95]
	v_add_f64 v[88:89], v[38:39], -v[30:31]
	v_fma_f64 v[98:99], v[130:131], s[30:31], v[122:123]
	v_add_f64 v[64:65], v[44:45], v[64:65]
	v_mul_f64 v[102:103], v[116:117], s[34:35]
	v_add_f64 v[140:141], v[92:93], v[100:101]
	v_fma_f64 v[100:101], v[130:131], s[30:31], -v[122:123]
	v_add_f64 v[142:143], v[96:97], v[110:111]
	v_add_f64 v[144:145], v[94:95], v[114:115]
	;; [unrolled: 1-line block ×4, first 2 shown]
	v_mul_f64 v[94:95], v[88:89], s[4:5]
	v_add_f64 v[92:93], v[42:43], -v[26:27]
	v_mul_f64 v[98:99], v[88:89], s[10:11]
	v_add_f64 v[64:65], v[48:49], v[64:65]
	v_add_f64 v[134:135], v[118:119], v[104:105]
	v_fma_f64 v[90:91], v[130:131], s[16:17], v[102:103]
	v_mul_f64 v[108:109], v[116:117], s[6:7]
	v_add_f64 v[148:149], v[100:101], v[106:107]
	v_fma_f64 v[114:115], v[130:131], s[16:17], -v[102:103]
	v_fma_f64 v[110:111], v[96:97], s[16:17], -v[94:95]
	v_add_f64 v[102:103], v[24:25], v[40:41]
	v_mul_f64 v[100:101], v[92:93], s[10:11]
	v_fma_f64 v[118:119], v[96:97], s[18:19], -v[98:99]
	v_mul_f64 v[104:105], v[92:93], s[6:7]
	v_add_f64 v[106:107], v[34:35], -v[22:23]
	v_add_f64 v[64:65], v[60:61], v[64:65]
	v_mul_f64 v[122:123], v[116:117], s[36:37]
	v_add_f64 v[150:151], v[90:91], v[112:113]
	v_fma_f64 v[90:91], v[130:131], s[22:23], v[108:109]
	v_fma_f64 v[152:153], v[130:131], s[22:23], -v[108:109]
	v_add_f64 v[126:127], v[0:1], v[110:111]
	v_fma_f64 v[128:129], v[102:103], s[18:19], -v[100:101]
	v_add_f64 v[118:119], v[0:1], v[118:119]
	;; [unrolled: 2-line block ×3, first 2 shown]
	v_mul_f64 v[108:109], v[106:107], s[14:15]
	v_mul_f64 v[110:111], v[106:107], s[26:27]
	;; [unrolled: 1-line block ×3, first 2 shown]
	v_add_f64 v[116:117], v[6:7], -v[18:19]
	v_add_f64 v[64:65], v[68:69], v[64:65]
	v_add_f64 v[158:159], v[114:115], v[120:121]
	;; [unrolled: 1-line block ×4, first 2 shown]
	v_fma_f64 v[160:161], v[112:113], s[20:21], -v[108:109]
	v_fma_f64 v[162:163], v[112:113], s[30:31], -v[110:111]
	v_add_f64 v[126:127], v[16:17], v[4:5]
	v_mul_f64 v[118:119], v[116:117], s[6:7]
	v_mul_f64 v[120:121], v[116:117], s[28:29]
	v_add_f64 v[114:115], v[10:11], -v[14:15]
	v_add_f64 v[64:65], v[76:77], v[64:65]
	v_fma_f64 v[164:165], v[130:131], s[18:19], v[122:123]
	v_fma_f64 v[166:167], v[130:131], s[18:19], -v[122:123]
	v_add_f64 v[168:169], v[90:91], v[124:125]
	v_add_f64 v[90:91], v[160:161], v[128:129]
	;; [unrolled: 1-line block ×3, first 2 shown]
	v_fma_f64 v[160:161], v[126:127], s[22:23], -v[118:119]
	v_fma_f64 v[162:163], v[126:127], s[20:21], -v[120:121]
	v_add_f64 v[128:129], v[12:13], v[8:9]
	v_mul_f64 v[122:123], v[114:115], s[34:35]
	v_mul_f64 v[124:125], v[114:115], s[24:25]
	v_add_f64 v[132:133], v[152:153], v[132:133]
	v_fma_f64 v[152:153], v[130:131], s[20:21], v[156:157]
	v_add_f64 v[170:171], v[72:73], v[64:65]
	v_fma_f64 v[64:65], v[130:131], s[20:21], -v[156:157]
	v_add_f64 v[90:91], v[160:161], v[90:91]
	v_add_f64 v[130:131], v[162:163], v[154:155]
	v_fma_f64 v[154:155], v[128:129], s[16:17], -v[122:123]
	v_fma_f64 v[156:157], v[128:129], s[30:31], -v[124:125]
	v_add_f64 v[134:135], v[164:165], v[134:135]
	v_add_f64 v[152:153], v[152:153], v[142:143]
	;; [unrolled: 1-line block ×4, first 2 shown]
	s_movk_i32 s2, 0x58
	v_mad_u32_u24 v142, v136, s2, 0
	v_add_f64 v[64:65], v[154:155], v[130:131]
	v_add_f64 v[90:91], v[156:157], v[90:91]
	v_cmp_gt_u32_e64 s[2:3], 50, v136
	ds_write2_b64 v142, v[170:171], v[146:147] offset1:1
	ds_write2_b64 v142, v[150:151], v[168:169] offset0:2 offset1:3
	ds_write2_b64 v142, v[134:135], v[152:153] offset0:4 offset1:5
	;; [unrolled: 1-line block ×4, first 2 shown]
	ds_write_b64 v142, v[148:149] offset:80
	s_and_saveexec_b64 s[38:39], s[2:3]
	s_cbranch_execz .LBB0_15
; %bb.14:
	v_mul_f64 v[130:131], v[96:97], s[30:31]
	v_mul_f64 v[149:150], v[102:103], s[16:17]
	;; [unrolled: 1-line block ×4, first 2 shown]
	s_mov_b32 s41, 0x3fe82f19
	s_mov_b32 s40, s6
	v_mul_f64 v[169:170], v[126:127], s[18:19]
	v_mul_f64 v[171:172], v[102:103], s[20:21]
	v_fma_f64 v[151:152], v[88:89], s[26:27], v[130:131]
	v_fma_f64 v[130:131], v[88:89], s[24:25], v[130:131]
	;; [unrolled: 1-line block ×5, first 2 shown]
	v_mul_f64 v[132:133], v[96:97], s[16:17]
	v_mul_f64 v[134:135], v[96:97], s[18:19]
	;; [unrolled: 1-line block ×3, first 2 shown]
	v_add_f64 v[151:152], v[0:1], v[151:152]
	v_add_f64 v[130:131], v[0:1], v[130:131]
	v_fma_f64 v[179:180], v[116:117], s[10:11], v[169:170]
	v_fma_f64 v[181:182], v[92:93], s[14:15], v[171:172]
	;; [unrolled: 1-line block ×3, first 2 shown]
	v_mul_f64 v[96:97], v[96:97], s[20:21]
	v_mul_f64 v[140:141], v[102:103], s[18:19]
	;; [unrolled: 1-line block ×3, first 2 shown]
	v_add_f64 v[151:152], v[165:166], v[151:152]
	v_add_f64 v[130:131], v[149:150], v[130:131]
	;; [unrolled: 1-line block ×3, first 2 shown]
	v_fma_f64 v[165:166], v[88:89], s[40:41], v[167:168]
	v_fma_f64 v[167:168], v[88:89], s[6:7], v[167:168]
	v_mul_f64 v[102:103], v[102:103], s[30:31]
	v_add_f64 v[94:95], v[94:95], v[132:133]
	v_add_f64 v[98:99], v[98:99], v[134:135]
	;; [unrolled: 1-line block ×3, first 2 shown]
	v_mul_f64 v[161:162], v[128:129], s[20:21]
	v_add_f64 v[149:150], v[40:41], v[149:150]
	v_mul_f64 v[145:146], v[112:113], s[20:21]
	v_add_f64 v[167:168], v[0:1], v[167:168]
	v_mul_f64 v[147:148], v[112:113], s[30:31]
	v_mul_f64 v[177:178], v[112:113], s[16:17]
	v_mul_f64 v[112:113], v[112:113], s[18:19]
	v_add_f64 v[151:152], v[179:180], v[151:152]
	v_fma_f64 v[179:180], v[116:117], s[26:27], v[175:176]
	v_add_f64 v[149:150], v[32:33], v[149:150]
	v_add_f64 v[100:101], v[100:101], v[140:141]
	;; [unrolled: 1-line block ×3, first 2 shown]
	v_fma_f64 v[171:172], v[116:117], s[24:25], v[175:176]
	v_fma_f64 v[175:176], v[88:89], s[14:15], v[96:97]
	;; [unrolled: 1-line block ×3, first 2 shown]
	v_add_f64 v[94:95], v[0:1], v[94:95]
	v_add_f64 v[104:105], v[104:105], v[143:144]
	;; [unrolled: 1-line block ×4, first 2 shown]
	v_fma_f64 v[173:174], v[114:115], s[28:29], v[161:162]
	v_add_f64 v[165:166], v[0:1], v[165:166]
	v_add_f64 v[96:97], v[0:1], v[175:176]
	;; [unrolled: 1-line block ×3, first 2 shown]
	v_mul_f64 v[153:154], v[126:127], s[22:23]
	v_mul_f64 v[155:156], v[126:127], s[20:21]
	v_add_f64 v[132:133], v[8:9], v[149:150]
	v_fma_f64 v[149:150], v[92:93], s[24:25], v[102:103]
	v_fma_f64 v[92:93], v[92:93], s[26:27], v[102:103]
	v_mul_f64 v[126:127], v[126:127], s[16:17]
	v_fma_f64 v[88:89], v[106:107], s[36:37], v[112:113]
	v_add_f64 v[94:95], v[100:101], v[94:95]
	v_fma_f64 v[163:164], v[106:107], s[6:7], v[163:164]
	v_add_f64 v[98:99], v[104:105], v[98:99]
	v_add_f64 v[102:103], v[12:13], v[132:133]
	;; [unrolled: 1-line block ×5, first 2 shown]
	v_fma_f64 v[173:174], v[106:107], s[4:5], v[177:178]
	v_fma_f64 v[183:184], v[106:107], s[34:35], v[177:178]
	v_add_f64 v[165:166], v[181:182], v[165:166]
	v_fma_f64 v[177:178], v[106:107], s[10:11], v[112:113]
	v_add_f64 v[100:101], v[16:17], v[102:103]
	v_add_f64 v[102:103], v[110:111], v[147:148]
	;; [unrolled: 1-line block ×3, first 2 shown]
	v_mul_f64 v[157:158], v[128:129], s[30:31]
	v_fma_f64 v[104:105], v[116:117], s[4:5], v[126:127]
	v_add_f64 v[88:89], v[88:89], v[92:93]
	v_add_f64 v[92:93], v[118:119], v[153:154]
	;; [unrolled: 1-line block ×4, first 2 shown]
	v_mul_f64 v[159:160], v[128:129], s[16:17]
	v_add_f64 v[130:131], v[163:164], v[130:131]
	v_mul_f64 v[163:164], v[128:129], s[18:19]
	v_mul_f64 v[128:129], v[128:129], s[22:23]
	v_add_f64 v[100:101], v[120:121], v[155:156]
	v_add_f64 v[98:99], v[102:103], v[98:99]
	v_fma_f64 v[169:170], v[116:117], s[36:37], v[169:170]
	v_add_f64 v[167:168], v[173:174], v[167:168]
	v_add_f64 v[165:166], v[183:184], v[165:166]
	v_fma_f64 v[173:174], v[116:117], s[34:35], v[126:127]
	v_add_f64 v[0:1], v[177:178], v[0:1]
	v_add_f64 v[88:89], v[104:105], v[88:89]
	;; [unrolled: 1-line block ×5, first 2 shown]
	v_fma_f64 v[102:103], v[114:115], s[6:7], v[128:129]
	v_add_f64 v[96:97], v[122:123], v[159:160]
	v_add_f64 v[98:99], v[100:101], v[98:99]
	v_fma_f64 v[161:162], v[114:115], s[14:15], v[161:162]
	v_add_f64 v[130:131], v[169:170], v[130:131]
	v_fma_f64 v[100:101], v[114:115], s[36:37], v[163:164]
	;; [unrolled: 2-line block ×4, first 2 shown]
	v_add_f64 v[0:1], v[173:174], v[0:1]
	v_add_f64 v[92:93], v[104:105], v[92:93]
	;; [unrolled: 1-line block ×9, first 2 shown]
	v_add_u32_e32 v104, 0x12e8, v142
	ds_write2_b64 v104, v[94:95], v[92:93] offset1:1
	v_add_u32_e32 v92, 0x12f8, v142
	ds_write2_b64 v92, v[96:97], v[88:89] offset1:1
	;; [unrolled: 2-line block ×5, first 2 shown]
	ds_write_b64 v142, v[90:91] offset:4920
.LBB0_15:
	s_or_b64 exec, exec, s[38:39]
	s_movk_i32 s4, 0xffb0
	v_mad_i32_i24 v137, v136, s4, v142
	v_add_u32_e32 v0, 0x400, v137
	s_waitcnt lgkmcnt(0)
	; wave barrier
	s_waitcnt lgkmcnt(0)
	ds_read2_b64 v[120:123], v0 offset0:103 offset1:158
	v_add_u32_e32 v0, 0xc00, v137
	ds_read2_b64 v[124:127], v0 offset0:78 offset1:133
	v_add_u32_e32 v0, 0x1000, v137
	v_add_u32_e32 v1, 0x1800, v137
	v_add_u32_e32 v88, 0x800, v137
	ds_read2_b64 v[96:99], v137 offset1:55
	ds_read2_b64 v[128:131], v0 offset0:181 offset1:236
	ds_read2_b64 v[132:135], v1 offset0:156 offset1:211
	;; [unrolled: 1-line block ×6, first 2 shown]
	v_add_u32_e32 v0, 0x2000, v137
	ds_read2_b64 v[104:107], v0 offset0:10 offset1:65
	v_cmp_gt_u32_e32 vcc, 11, v136
                                        ; implicit-def: $vgpr140_vgpr141
                                        ; implicit-def: $vgpr102_vgpr103
	s_and_saveexec_b64 s[4:5], vcc
	s_cbranch_execz .LBB0_17
; %bb.16:
	v_add_u32_e32 v0, 0x680, v137
	ds_read2_b64 v[88:91], v0 offset0:12 offset1:243
	v_add_u32_e32 v0, 0x1500, v137
	ds_read2_b64 v[100:103], v0 offset0:10 offset1:241
	ds_read_b64 v[140:141], v137 offset:9152
	s_waitcnt lgkmcnt(2)
	v_mov_b32_e32 v64, v88
	v_mov_b32_e32 v65, v89
.LBB0_17:
	s_or_b64 exec, exec, s[4:5]
	v_add_f64 v[0:1], v[86:87], v[66:67]
	v_add_f64 v[72:73], v[84:85], -v[72:73]
	s_mov_b32 s22, 0xf8bb580b
	s_mov_b32 s36, 0x8eee2c13
	;; [unrolled: 1-line block ×4, first 2 shown]
	v_add_f64 v[86:87], v[74:75], v[86:87]
	v_add_f64 v[76:77], v[80:81], -v[76:77]
	v_add_f64 v[0:1], v[82:83], v[0:1]
	v_mul_f64 v[80:81], v[72:73], s[22:23]
	v_mul_f64 v[84:85], v[72:73], s[36:37]
	s_mov_b32 s4, 0xd9c712b6
	s_mov_b32 s10, 0x43842ef
	;; [unrolled: 1-line block ×5, first 2 shown]
	v_add_f64 v[0:1], v[58:59], v[0:1]
	s_mov_b32 s19, 0xbfe82f19
	v_add_f64 v[82:83], v[78:79], v[82:83]
	v_mul_f64 v[88:89], v[72:73], s[10:11]
	v_mul_f64 v[143:144], v[72:73], s[18:19]
	;; [unrolled: 1-line block ×5, first 2 shown]
	v_add_f64 v[0:1], v[54:55], v[0:1]
	v_fma_f64 v[153:154], v[86:87], s[16:17], -v[80:81]
	v_fma_f64 v[80:81], v[86:87], s[16:17], v[80:81]
	v_fma_f64 v[155:156], v[86:87], s[4:5], -v[84:85]
	v_fma_f64 v[84:85], v[86:87], s[4:5], v[84:85]
	s_mov_b32 s6, 0x640f44db
	s_mov_b32 s14, 0x7f775887
	;; [unrolled: 1-line block ×3, first 2 shown]
	v_add_f64 v[0:1], v[46:47], v[0:1]
	s_mov_b32 s7, 0xbfc2375f
	s_mov_b32 s15, 0xbfe4f49e
	;; [unrolled: 1-line block ×7, first 2 shown]
	v_add_f64 v[0:1], v[50:51], v[0:1]
	v_mul_f64 v[149:150], v[76:77], s[28:29]
	v_mul_f64 v[151:152], v[76:77], s[30:31]
	v_fma_f64 v[157:158], v[86:87], s[6:7], -v[88:89]
	v_fma_f64 v[88:89], v[86:87], s[6:7], v[88:89]
	v_fma_f64 v[159:160], v[86:87], s[14:15], -v[143:144]
	v_fma_f64 v[143:144], v[86:87], s[14:15], v[143:144]
	v_fma_f64 v[161:162], v[86:87], s[20:21], -v[72:73]
	v_add_f64 v[0:1], v[62:63], v[0:1]
	v_fma_f64 v[72:73], v[86:87], s[20:21], v[72:73]
	v_fma_f64 v[86:87], v[82:83], s[4:5], -v[145:146]
	v_fma_f64 v[145:146], v[82:83], s[4:5], v[145:146]
	v_fma_f64 v[163:164], v[82:83], s[14:15], -v[147:148]
	v_fma_f64 v[147:148], v[82:83], s[14:15], v[147:148]
	v_add_f64 v[153:154], v[66:67], v[153:154]
	v_add_f64 v[80:81], v[66:67], v[80:81]
	;; [unrolled: 1-line block ×4, first 2 shown]
	v_add_f64 v[56:57], v[56:57], -v[68:69]
	s_mov_b32 s34, s22
	v_add_f64 v[155:156], v[66:67], v[155:156]
	v_add_f64 v[157:158], v[66:67], v[157:158]
	;; [unrolled: 1-line block ×11, first 2 shown]
	v_fma_f64 v[86:87], v[82:83], s[20:21], v[149:150]
	v_add_f64 v[74:75], v[74:75], v[0:1]
	v_mul_f64 v[0:1], v[76:77], s[34:35]
	v_fma_f64 v[145:146], v[82:83], s[6:7], -v[151:152]
	v_fma_f64 v[147:148], v[82:83], s[6:7], v[151:152]
	v_add_f64 v[58:59], v[70:71], v[58:59]
	v_mul_f64 v[70:71], v[56:57], s[10:11]
	s_mov_b32 s27, 0x3fed1bb4
	s_mov_b32 s26, s36
	v_fma_f64 v[68:69], v[82:83], s[20:21], -v[149:150]
	v_fma_f64 v[149:150], v[82:83], s[16:17], -v[0:1]
	v_mul_f64 v[151:152], v[56:57], s[28:29]
	v_add_f64 v[78:79], v[86:87], v[78:79]
	v_add_f64 v[86:87], v[145:146], v[88:89]
	;; [unrolled: 1-line block ×3, first 2 shown]
	v_fma_f64 v[0:1], v[82:83], s[16:17], v[0:1]
	v_fma_f64 v[82:83], v[58:59], s[6:7], -v[70:71]
	v_mul_f64 v[147:148], v[56:57], s[26:27]
	v_add_f64 v[68:69], v[68:69], v[157:158]
	v_add_f64 v[143:144], v[149:150], v[159:160]
	v_fma_f64 v[70:71], v[58:59], s[6:7], v[70:71]
	v_fma_f64 v[149:150], v[58:59], s[20:21], v[151:152]
	v_add_f64 v[52:53], v[52:53], -v[60:61]
	v_add_f64 v[0:1], v[0:1], v[66:67]
	v_add_f64 v[66:67], v[82:83], v[72:73]
	v_mul_f64 v[72:73], v[56:57], s[22:23]
	v_fma_f64 v[60:61], v[58:59], s[4:5], -v[147:148]
	v_add_f64 v[76:77], v[163:164], v[155:156]
	v_fma_f64 v[145:146], v[58:59], s[20:21], -v[151:152]
	v_add_f64 v[70:71], v[70:71], v[80:81]
	v_add_f64 v[80:81], v[149:150], v[84:85]
	v_mul_f64 v[56:57], v[56:57], s[18:19]
	v_add_f64 v[54:55], v[62:63], v[54:55]
	v_fma_f64 v[84:85], v[58:59], s[16:17], -v[72:73]
	v_add_f64 v[60:61], v[60:61], v[68:69]
	v_mul_f64 v[68:69], v[52:53], s[30:31]
	v_add_f64 v[76:77], v[145:146], v[76:77]
	v_fma_f64 v[82:83], v[58:59], s[4:5], v[147:148]
	v_fma_f64 v[72:73], v[58:59], s[16:17], v[72:73]
	v_mul_f64 v[62:63], v[52:53], s[18:19]
	v_fma_f64 v[145:146], v[58:59], s[14:15], -v[56:57]
	v_fma_f64 v[56:57], v[58:59], s[14:15], v[56:57]
	v_add_f64 v[58:59], v[84:85], v[86:87]
	v_fma_f64 v[84:85], v[54:55], s[6:7], -v[68:69]
	v_add_f64 v[50:51], v[50:51], v[46:47]
	v_add_f64 v[78:79], v[82:83], v[78:79]
	;; [unrolled: 1-line block ×3, first 2 shown]
	v_fma_f64 v[82:83], v[54:55], s[14:15], -v[62:63]
	v_fma_f64 v[62:63], v[54:55], s[14:15], v[62:63]
	v_mul_f64 v[88:89], v[52:53], s[22:23]
	v_add_f64 v[0:1], v[56:57], v[0:1]
	v_fma_f64 v[56:57], v[54:55], s[6:7], v[68:69]
	v_mul_f64 v[68:69], v[52:53], s[24:25]
	v_add_f64 v[76:77], v[84:85], v[76:77]
	v_add_f64 v[84:85], v[44:45], -v[48:49]
	v_add_f64 v[82:83], v[82:83], v[66:67]
	v_add_f64 v[70:71], v[62:63], v[70:71]
	v_fma_f64 v[44:45], v[54:55], s[16:17], -v[88:89]
	v_fma_f64 v[48:49], v[54:55], s[16:17], v[88:89]
	v_mul_f64 v[52:53], v[52:53], s[26:27]
	v_fma_f64 v[62:63], v[54:55], s[20:21], v[68:69]
	v_add_f64 v[66:67], v[36:37], -v[28:29]
	v_mul_f64 v[46:47], v[84:85], s[24:25]
	v_add_f64 v[86:87], v[145:146], v[143:144]
	v_add_f64 v[80:81], v[56:57], v[80:81]
	v_fma_f64 v[56:57], v[54:55], s[20:21], -v[68:69]
	v_add_f64 v[68:69], v[44:45], v[60:61]
	v_add_f64 v[78:79], v[48:49], v[78:79]
	v_fma_f64 v[28:29], v[54:55], s[4:5], -v[52:53]
	v_add_f64 v[72:73], v[62:63], v[72:73]
	v_fma_f64 v[44:45], v[54:55], s[4:5], v[52:53]
	v_fma_f64 v[52:53], v[50:51], s[20:21], -v[46:47]
	v_fma_f64 v[54:55], v[50:51], s[20:21], v[46:47]
	v_add_f64 v[36:37], v[30:31], v[38:39]
	v_mul_f64 v[46:47], v[66:67], s[22:23]
	v_mul_f64 v[48:49], v[66:67], s[36:37]
	v_add_f64 v[62:63], v[40:41], -v[24:25]
	v_add_f64 v[86:87], v[28:29], v[86:87]
	v_add_f64 v[143:144], v[44:45], v[0:1]
	v_mul_f64 v[0:1], v[84:85], s[34:35]
	v_add_f64 v[82:83], v[52:53], v[82:83]
	v_add_f64 v[70:71], v[54:55], v[70:71]
	v_fma_f64 v[24:25], v[36:37], s[16:17], v[46:47]
	v_fma_f64 v[28:29], v[36:37], s[4:5], v[48:49]
	v_add_f64 v[44:45], v[26:27], v[42:43]
	v_mul_f64 v[52:53], v[62:63], s[36:37]
	v_mul_f64 v[54:55], v[62:63], s[18:19]
	v_add_f64 v[60:61], v[32:33], -v[20:21]
	v_add_f64 v[88:89], v[56:57], v[58:59]
	v_fma_f64 v[40:41], v[50:51], s[16:17], -v[0:1]
	v_fma_f64 v[0:1], v[50:51], s[16:17], v[0:1]
	v_add_f64 v[20:21], v[2:3], v[24:25]
	v_add_f64 v[32:33], v[2:3], v[28:29]
	v_fma_f64 v[147:148], v[44:45], s[4:5], v[52:53]
	v_fma_f64 v[149:150], v[44:45], s[14:15], v[54:55]
	v_add_f64 v[28:29], v[22:23], v[34:35]
	v_mul_f64 v[56:57], v[60:61], s[10:11]
	v_mul_f64 v[58:59], v[60:61], s[28:29]
	v_add_f64 v[24:25], v[4:5], -v[16:17]
	v_add_f64 v[76:77], v[40:41], v[76:77]
	v_add_f64 v[80:81], v[0:1], v[80:81]
	;; [unrolled: 1-line block ×5, first 2 shown]
	v_fma_f64 v[147:148], v[28:29], s[6:7], v[56:57]
	v_fma_f64 v[149:150], v[28:29], s[20:21], v[58:59]
	v_mul_f64 v[32:33], v[24:25], s[18:19]
	v_mul_f64 v[40:41], v[24:25], s[30:31]
	v_add_f64 v[4:5], v[8:9], -v[12:13]
	v_mul_f64 v[145:146], v[84:85], s[18:19]
	v_mul_f64 v[12:13], v[84:85], s[26:27]
	;; [unrolled: 1-line block ×3, first 2 shown]
	v_add_f64 v[147:148], v[147:148], v[0:1]
	v_add_f64 v[149:150], v[149:150], v[16:17]
	v_fma_f64 v[153:154], v[20:21], s[14:15], v[32:33]
	v_fma_f64 v[155:156], v[20:21], s[6:7], v[40:41]
	v_add_f64 v[0:1], v[14:15], v[10:11]
	v_mul_f64 v[8:9], v[4:5], s[24:25]
	v_mul_f64 v[16:17], v[4:5], s[34:35]
	v_fma_f64 v[151:152], v[50:51], s[14:15], -v[145:146]
	v_fma_f64 v[145:146], v[50:51], s[14:15], v[145:146]
	v_fma_f64 v[157:158], v[50:51], s[4:5], -v[12:13]
	v_fma_f64 v[12:13], v[50:51], s[4:5], v[12:13]
	;; [unrolled: 2-line block ×3, first 2 shown]
	v_add_f64 v[84:85], v[153:154], v[147:148]
	v_add_f64 v[147:148], v[155:156], v[149:150]
	v_fma_f64 v[149:150], v[0:1], s[20:21], v[8:9]
	v_fma_f64 v[153:154], v[0:1], s[16:17], v[16:17]
	v_add_f64 v[78:79], v[145:146], v[78:79]
	v_add_f64 v[72:73], v[12:13], v[72:73]
	v_add_f64 v[68:69], v[151:152], v[68:69]
	v_add_f64 v[145:146], v[50:51], v[143:144]
	v_add_f64 v[88:89], v[157:158], v[88:89]
	v_add_f64 v[86:87], v[159:160], v[86:87]
	v_add_f64 v[12:13], v[149:150], v[84:85]
	v_add_f64 v[50:51], v[153:154], v[147:148]
	v_add_u32_e32 v144, 55, v136
	s_waitcnt lgkmcnt(0)
	; wave barrier
	s_waitcnt lgkmcnt(0)
	ds_write2_b64 v142, v[74:75], v[82:83] offset1:1
	ds_write2_b64 v142, v[76:77], v[68:69] offset0:2 offset1:3
	ds_write2_b64 v142, v[88:89], v[86:87] offset0:4 offset1:5
	;; [unrolled: 1-line block ×4, first 2 shown]
	ds_write_b64 v142, v[70:71] offset:80
	s_and_saveexec_b64 s[36:37], s[2:3]
	s_cbranch_execz .LBB0_19
; %bb.18:
	v_add_f64 v[38:39], v[38:39], v[2:3]
	v_mul_f64 v[68:69], v[36:37], s[16:17]
	v_mul_f64 v[70:71], v[36:37], s[4:5]
	;; [unrolled: 1-line block ×7, first 2 shown]
	v_add_f64 v[38:39], v[42:43], v[38:39]
	v_mul_f64 v[142:143], v[62:63], s[28:29]
	v_add_f64 v[46:47], v[68:69], -v[46:47]
	v_fma_f64 v[68:69], v[36:37], s[6:7], v[86:87]
	v_mul_f64 v[76:77], v[28:29], s[6:7]
	v_mul_f64 v[78:79], v[28:29], s[20:21]
	;; [unrolled: 1-line block ×4, first 2 shown]
	v_add_f64 v[34:35], v[34:35], v[38:39]
	v_mul_f64 v[38:39], v[62:63], s[30:31]
	v_mul_f64 v[62:63], v[62:63], s[34:35]
	;; [unrolled: 1-line block ×3, first 2 shown]
	v_add_f64 v[46:47], v[2:3], v[46:47]
	v_add_f64 v[68:69], v[2:3], v[68:69]
	v_mul_f64 v[80:81], v[20:21], s[14:15]
	v_mul_f64 v[42:43], v[20:21], s[6:7]
	v_add_f64 v[6:7], v[6:7], v[34:35]
	v_add_f64 v[34:35], v[70:71], -v[48:49]
	v_fma_f64 v[48:49], v[36:37], s[6:7], -v[86:87]
	v_fma_f64 v[70:71], v[36:37], s[14:15], -v[88:89]
	v_fma_f64 v[86:87], v[36:37], s[14:15], v[88:89]
	v_fma_f64 v[88:89], v[36:37], s[20:21], -v[66:67]
	v_fma_f64 v[36:37], v[36:37], s[20:21], v[66:67]
	v_fma_f64 v[66:67], v[44:45], s[20:21], v[142:143]
	v_add_f64 v[6:7], v[10:11], v[6:7]
	v_add_f64 v[10:11], v[72:73], -v[52:53]
	v_add_f64 v[52:53], v[74:75], -v[54:55]
	v_fma_f64 v[54:55], v[44:45], s[20:21], -v[142:143]
	v_fma_f64 v[72:73], v[44:45], s[6:7], -v[38:39]
	v_fma_f64 v[38:39], v[44:45], s[6:7], v[38:39]
	v_fma_f64 v[74:75], v[44:45], s[16:17], -v[62:63]
	v_add_f64 v[34:35], v[2:3], v[34:35]
	v_add_f64 v[6:7], v[14:15], v[6:7]
	v_fma_f64 v[14:15], v[44:45], s[16:17], v[62:63]
	v_add_f64 v[48:49], v[2:3], v[48:49]
	v_add_f64 v[70:71], v[2:3], v[70:71]
	;; [unrolled: 1-line block ×3, first 2 shown]
	v_mul_f64 v[149:150], v[24:25], s[22:23]
	v_add_f64 v[44:45], v[76:77], -v[56:57]
	v_add_f64 v[56:57], v[78:79], -v[58:59]
	v_add_f64 v[6:7], v[18:19], v[6:7]
	v_fma_f64 v[58:59], v[28:29], s[4:5], -v[145:146]
	v_fma_f64 v[62:63], v[28:29], s[4:5], v[145:146]
	v_fma_f64 v[76:77], v[28:29], s[16:17], -v[147:148]
	v_fma_f64 v[78:79], v[28:29], s[16:17], v[147:148]
	v_fma_f64 v[18:19], v[28:29], s[14:15], -v[60:61]
	v_add_f64 v[10:11], v[10:11], v[46:47]
	v_add_f64 v[34:35], v[52:53], v[34:35]
	;; [unrolled: 1-line block ×8, first 2 shown]
	v_fma_f64 v[28:29], v[28:29], s[14:15], v[60:61]
	v_add_f64 v[10:11], v[44:45], v[10:11]
	v_add_f64 v[6:7], v[26:27], v[6:7]
	;; [unrolled: 1-line block ×5, first 2 shown]
	v_mul_f64 v[38:39], v[24:25], s[24:25]
	v_add_f64 v[14:15], v[56:57], v[34:35]
	v_add_f64 v[34:35], v[58:59], v[36:37]
	;; [unrolled: 1-line block ×5, first 2 shown]
	v_add_f64 v[32:33], v[80:81], -v[32:33]
	v_add_f64 v[40:41], v[42:43], -v[40:41]
	v_add_f64 v[18:19], v[18:19], v[22:23]
	v_fma_f64 v[22:23], v[20:21], s[16:17], -v[149:150]
	v_mul_f64 v[24:25], v[24:25], s[26:27]
	v_add_f64 v[2:3], v[28:29], v[2:3]
	v_fma_f64 v[28:29], v[20:21], s[16:17], v[149:150]
	v_fma_f64 v[42:43], v[20:21], s[20:21], -v[38:39]
	v_mul_f64 v[82:83], v[0:1], s[20:21]
	v_mul_f64 v[84:85], v[0:1], s[16:17]
	v_add_f64 v[10:11], v[32:33], v[10:11]
	v_fma_f64 v[32:33], v[20:21], s[20:21], v[38:39]
	v_add_f64 v[22:23], v[22:23], v[34:35]
	v_fma_f64 v[34:35], v[20:21], s[4:5], -v[24:25]
	v_fma_f64 v[20:21], v[20:21], s[4:5], v[24:25]
	v_add_f64 v[24:25], v[28:29], v[36:37]
	v_add_f64 v[28:29], v[42:43], v[30:31]
	v_mul_f64 v[30:31], v[4:5], s[18:19]
	v_add_f64 v[26:27], v[78:79], v[26:27]
	v_mul_f64 v[36:37], v[4:5], s[26:27]
	v_mul_f64 v[4:5], v[4:5], s[10:11]
	v_add_f64 v[8:9], v[82:83], -v[8:9]
	v_add_f64 v[14:15], v[40:41], v[14:15]
	v_add_f64 v[2:3], v[20:21], v[2:3]
	v_add_f64 v[16:17], v[84:85], -v[16:17]
	v_fma_f64 v[20:21], v[0:1], s[14:15], -v[30:31]
	v_add_f64 v[26:27], v[32:33], v[26:27]
	v_add_f64 v[18:19], v[34:35], v[18:19]
	v_fma_f64 v[32:33], v[0:1], s[4:5], -v[36:37]
	v_fma_f64 v[34:35], v[0:1], s[4:5], v[36:37]
	v_fma_f64 v[36:37], v[0:1], s[6:7], -v[4:5]
	v_fma_f64 v[4:5], v[0:1], s[6:7], v[4:5]
	v_fma_f64 v[0:1], v[0:1], s[14:15], v[30:31]
	v_add_f64 v[8:9], v[8:9], v[10:11]
	v_add_f64 v[10:11], v[16:17], v[14:15]
	;; [unrolled: 1-line block ×8, first 2 shown]
	s_movk_i32 s2, 0x58
	v_mad_u32_u24 v4, v144, s2, 0
	ds_write2_b64 v4, v[6:7], v[8:9] offset1:1
	ds_write2_b64 v4, v[10:11], v[14:15] offset0:2 offset1:3
	ds_write2_b64 v4, v[16:17], v[18:19] offset0:4 offset1:5
	;; [unrolled: 1-line block ×4, first 2 shown]
	ds_write_b64 v4, v[12:13] offset:80
.LBB0_19:
	s_or_b64 exec, exec, s[36:37]
	v_add_u32_e32 v0, 0x400, v137
	s_waitcnt lgkmcnt(0)
	; wave barrier
	s_waitcnt lgkmcnt(0)
	ds_read2_b64 v[34:37], v0 offset0:103 offset1:158
	v_add_u32_e32 v0, 0xc00, v137
	v_add_u32_e32 v8, 0x1000, v137
	;; [unrolled: 1-line block ×4, first 2 shown]
	ds_read2_b64 v[4:7], v137 offset1:55
	ds_read2_b64 v[38:41], v0 offset0:78 offset1:133
	ds_read2_b64 v[42:45], v8 offset0:181 offset1:236
	;; [unrolled: 1-line block ×7, first 2 shown]
	v_add_u32_e32 v8, 0x2000, v137
	ds_read2_b64 v[18:21], v8 offset0:10 offset1:65
                                        ; implicit-def: $vgpr52_vgpr53
                                        ; implicit-def: $vgpr16_vgpr17
	s_and_saveexec_b64 s[2:3], vcc
	s_cbranch_execz .LBB0_21
; %bb.20:
	v_add_u32_e32 v8, 0x680, v137
	ds_read2_b64 v[10:13], v8 offset0:12 offset1:243
	v_add_u32_e32 v8, 0x1500, v137
	ds_read2_b64 v[14:17], v8 offset0:10 offset1:241
	ds_read_b64 v[52:53], v137 offset:9152
	s_waitcnt lgkmcnt(2)
	v_mov_b32_e32 v51, v11
	v_mov_b32_e32 v50, v10
.LBB0_21:
	s_or_b64 exec, exec, s[2:3]
	s_movk_i32 s2, 0x75
	v_mul_lo_u16_sdwa v8, v136, s2 dst_sel:DWORD dst_unused:UNUSED_PAD src0_sel:BYTE_0 src1_sel:DWORD
	v_sub_u16_sdwa v9, v136, v8 dst_sel:DWORD dst_unused:UNUSED_PAD src0_sel:DWORD src1_sel:BYTE_1
	v_lshrrev_b16_e32 v9, 1, v9
	v_and_b32_e32 v9, 0x7f, v9
	v_add_u16_sdwa v8, v9, v8 dst_sel:DWORD dst_unused:UNUSED_PAD src0_sel:DWORD src1_sel:BYTE_1
	v_lshrrev_b16_e32 v148, 3, v8
	v_mul_lo_u16_e32 v8, 11, v148
	v_sub_u16_e32 v149, v136, v8
	v_mov_b32_e32 v62, 6
	v_lshlrev_b32_sdwa v63, v62, v149 dst_sel:DWORD dst_unused:UNUSED_PAD src0_sel:DWORD src1_sel:BYTE_0
	global_load_dwordx4 v[8:11], v63, s[8:9] offset:48
	global_load_dwordx4 v[54:57], v63, s[8:9] offset:32
	;; [unrolled: 1-line block ×3, first 2 shown]
	global_load_dwordx4 v[66:69], v63, s[8:9]
	v_mul_lo_u16_sdwa v63, v144, s2 dst_sel:DWORD dst_unused:UNUSED_PAD src0_sel:BYTE_0 src1_sel:DWORD
	v_sub_u16_sdwa v70, v144, v63 dst_sel:DWORD dst_unused:UNUSED_PAD src0_sel:DWORD src1_sel:BYTE_1
	v_lshrrev_b16_e32 v70, 1, v70
	v_and_b32_e32 v70, 0x7f, v70
	v_add_u16_sdwa v63, v70, v63 dst_sel:DWORD dst_unused:UNUSED_PAD src0_sel:DWORD src1_sel:BYTE_1
	v_lshrrev_b16_e32 v150, 3, v63
	v_mul_lo_u16_e32 v63, 11, v150
	v_sub_u16_e32 v151, v144, v63
	v_add_u32_e32 v146, 0x6e, v136
	v_lshlrev_b32_sdwa v63, v62, v151 dst_sel:DWORD dst_unused:UNUSED_PAD src0_sel:DWORD src1_sel:BYTE_0
	global_load_dwordx4 v[70:73], v63, s[8:9] offset:48
	global_load_dwordx4 v[86:89], v63, s[8:9] offset:32
	;; [unrolled: 1-line block ×3, first 2 shown]
	global_load_dwordx4 v[74:77], v63, s[8:9]
	v_mul_lo_u16_sdwa v63, v146, s2 dst_sel:DWORD dst_unused:UNUSED_PAD src0_sel:BYTE_0 src1_sel:DWORD
	v_sub_u16_sdwa v82, v146, v63 dst_sel:DWORD dst_unused:UNUSED_PAD src0_sel:DWORD src1_sel:BYTE_1
	v_lshrrev_b16_e32 v82, 1, v82
	v_and_b32_e32 v82, 0x7f, v82
	v_add_u16_sdwa v63, v82, v63 dst_sel:DWORD dst_unused:UNUSED_PAD src0_sel:DWORD src1_sel:BYTE_1
	v_lshrrev_b16_e32 v218, 3, v63
	v_mul_lo_u16_e32 v63, 11, v218
	v_sub_u16_e32 v219, v146, v63
	v_lshlrev_b32_sdwa v63, v62, v219 dst_sel:DWORD dst_unused:UNUSED_PAD src0_sel:DWORD src1_sel:BYTE_0
	v_add_u32_e32 v147, 0xa5, v136
	global_load_dwordx4 v[152:155], v63, s[8:9]
	global_load_dwordx4 v[156:159], v63, s[8:9] offset:16
	global_load_dwordx4 v[160:163], v63, s[8:9] offset:48
	;; [unrolled: 1-line block ×3, first 2 shown]
	v_mul_lo_u16_sdwa v63, v147, s2 dst_sel:DWORD dst_unused:UNUSED_PAD src0_sel:BYTE_0 src1_sel:DWORD
	v_sub_u16_sdwa v82, v147, v63 dst_sel:DWORD dst_unused:UNUSED_PAD src0_sel:DWORD src1_sel:BYTE_1
	v_lshrrev_b16_e32 v82, 1, v82
	v_and_b32_e32 v82, 0x7f, v82
	v_add_u16_sdwa v63, v82, v63 dst_sel:DWORD dst_unused:UNUSED_PAD src0_sel:DWORD src1_sel:BYTE_1
	v_lshrrev_b16_e32 v220, 3, v63
	v_mul_lo_u16_e32 v63, 11, v220
	v_sub_u16_e32 v221, v147, v63
	v_lshlrev_b32_sdwa v62, v62, v221 dst_sel:DWORD dst_unused:UNUSED_PAD src0_sel:DWORD src1_sel:BYTE_0
	global_load_dwordx4 v[168:171], v62, s[8:9]
	global_load_dwordx4 v[172:175], v62, s[8:9] offset:16
	global_load_dwordx4 v[176:179], v62, s[8:9] offset:32
	;; [unrolled: 1-line block ×3, first 2 shown]
	v_add_u32_e32 v145, 0xdc, v136
	s_mov_b32 s2, 0xba2f
	v_mul_u32_u24_sdwa v62, v145, s2 dst_sel:DWORD dst_unused:UNUSED_PAD src0_sel:WORD_0 src1_sel:DWORD
	v_lshrrev_b32_e32 v62, 19, v62
	v_mul_lo_u16_e32 v62, 11, v62
	v_sub_u16_e32 v222, v145, v62
	v_lshlrev_b32_e32 v62, 6, v222
	global_load_dwordx4 v[184:187], v62, s[8:9]
	global_load_dwordx4 v[188:191], v62, s[8:9] offset:16
	global_load_dwordx4 v[192:195], v62, s[8:9] offset:32
	;; [unrolled: 1-line block ×3, first 2 shown]
	s_mov_b32 s2, 0x134454ff
	s_mov_b32 s3, 0xbfee6f0e
	;; [unrolled: 1-line block ×10, first 2 shown]
	s_waitcnt lgkmcnt(0)
	; wave barrier
	s_waitcnt vmcnt(19) lgkmcnt(0)
	v_mul_f64 v[200:201], v[46:47], v[10:11]
	s_waitcnt vmcnt(18)
	v_mul_f64 v[84:85], v[42:43], v[56:57]
	s_waitcnt vmcnt(17)
	;; [unrolled: 2-line block ×3, first 2 shown]
	v_mul_f64 v[62:63], v[34:35], v[68:69]
	v_mul_f64 v[60:61], v[124:125], v[60:61]
	;; [unrolled: 1-line block ×5, first 2 shown]
	s_waitcnt vmcnt(15)
	v_mul_f64 v[214:215], v[48:49], v[72:73]
	s_waitcnt vmcnt(14)
	v_mul_f64 v[212:213], v[130:131], v[88:89]
	;; [unrolled: 2-line block ×4, first 2 shown]
	v_mul_f64 v[202:203], v[36:37], v[76:77]
	v_mul_f64 v[206:207], v[40:41], v[80:81]
	v_mul_f64 v[210:211], v[44:45], v[88:89]
	v_mul_f64 v[72:73], v[134:135], v[72:73]
	v_fma_f64 v[142:143], v[120:121], v[66:67], v[62:63]
	v_fma_f64 v[120:121], v[124:125], v[58:59], v[82:83]
	v_fma_f64 v[82:83], v[38:39], v[58:59], -v[60:61]
	v_fma_f64 v[124:125], v[128:129], v[54:55], v[84:85]
	v_fma_f64 v[128:129], v[132:133], v[8:9], v[200:201]
	v_fma_f64 v[76:77], v[46:47], v[8:9], -v[10:11]
	v_fma_f64 v[38:39], v[36:37], v[74:75], -v[204:205]
	;; [unrolled: 1-line block ×4, first 2 shown]
	s_waitcnt vmcnt(11)
	v_mul_f64 v[8:9], v[116:117], v[154:155]
	s_waitcnt vmcnt(10)
	v_mul_f64 v[10:11], v[26:27], v[158:159]
	v_mul_f64 v[36:37], v[112:113], v[158:159]
	s_waitcnt vmcnt(8)
	v_mul_f64 v[40:41], v[22:23], v[166:167]
	v_mul_f64 v[44:45], v[18:19], v[162:163]
	;; [unrolled: 1-line block ×3, first 2 shown]
	v_fma_f64 v[88:89], v[34:35], v[66:67], -v[68:69]
	v_fma_f64 v[80:81], v[42:43], v[54:55], -v[56:57]
	;; [unrolled: 1-line block ×3, first 2 shown]
	v_mul_f64 v[42:43], v[108:109], v[166:167]
	v_fma_f64 v[34:35], v[30:31], v[152:153], -v[8:9]
	v_fma_f64 v[66:67], v[112:113], v[156:157], v[10:11]
	v_fma_f64 v[36:37], v[26:27], v[156:157], -v[36:37]
	v_fma_f64 v[68:69], v[108:109], v[164:165], v[40:41]
	s_waitcnt vmcnt(7)
	v_mul_f64 v[8:9], v[32:33], v[170:171]
	v_fma_f64 v[72:73], v[104:105], v[160:161], v[44:45]
	v_fma_f64 v[26:27], v[18:19], v[160:161], -v[46:47]
	v_mul_f64 v[10:11], v[118:119], v[170:171]
	s_waitcnt vmcnt(6)
	v_mul_f64 v[18:19], v[28:29], v[174:175]
	v_mul_f64 v[40:41], v[114:115], v[174:175]
	s_waitcnt vmcnt(5)
	v_mul_f64 v[44:45], v[110:111], v[178:179]
	v_mul_f64 v[216:217], v[30:31], v[154:155]
	v_fma_f64 v[22:23], v[22:23], v[164:165], -v[42:43]
	v_mul_f64 v[42:43], v[24:25], v[178:179]
	v_fma_f64 v[30:31], v[118:119], v[168:169], v[8:9]
	s_waitcnt vmcnt(4)
	v_mul_f64 v[46:47], v[20:21], v[182:183]
	v_mul_f64 v[48:49], v[106:107], v[182:183]
	v_fma_f64 v[10:11], v[32:33], v[168:169], -v[10:11]
	v_fma_f64 v[32:33], v[114:115], v[172:173], v[18:19]
	v_fma_f64 v[18:19], v[28:29], v[172:173], -v[40:41]
	v_fma_f64 v[8:9], v[24:25], v[176:177], -v[44:45]
	s_waitcnt vmcnt(3)
	v_mul_f64 v[40:41], v[12:13], v[186:187]
	s_waitcnt vmcnt(2)
	v_mul_f64 v[44:45], v[14:15], v[190:191]
	v_mul_f64 v[56:57], v[100:101], v[190:191]
	v_add_f64 v[104:105], v[120:121], v[124:125]
	v_fma_f64 v[28:29], v[110:111], v[176:177], v[42:43]
	v_fma_f64 v[24:25], v[106:107], v[180:181], v[46:47]
	v_fma_f64 v[20:21], v[20:21], v[180:181], -v[48:49]
	v_mul_f64 v[42:43], v[90:91], v[186:187]
	v_add_f64 v[48:49], v[96:97], v[142:143]
	v_fma_f64 v[54:55], v[90:91], v[184:185], v[40:41]
	s_waitcnt vmcnt(1)
	v_mul_f64 v[40:41], v[16:17], v[194:195]
	v_mul_f64 v[90:91], v[102:103], v[194:195]
	v_fma_f64 v[46:47], v[100:101], v[188:189], v[44:45]
	v_fma_f64 v[44:45], v[14:15], v[188:189], -v[56:57]
	v_fma_f64 v[14:15], v[104:105], -0.5, v[96:97]
	v_add_f64 v[100:101], v[88:89], -v[76:77]
	v_add_f64 v[110:111], v[142:143], v[128:129]
	v_fma_f64 v[42:43], v[12:13], v[184:185], -v[42:43]
	v_add_f64 v[12:13], v[48:49], v[120:121]
	v_fma_f64 v[48:49], v[102:103], v[192:193], v[40:41]
	v_fma_f64 v[40:41], v[16:17], v[192:193], -v[90:91]
	s_waitcnt vmcnt(0)
	v_mul_f64 v[16:17], v[52:53], v[198:199]
	v_mul_f64 v[90:91], v[140:141], v[198:199]
	v_fma_f64 v[102:103], v[100:101], s[2:3], v[14:15]
	v_add_f64 v[104:105], v[82:83], -v[80:81]
	v_add_f64 v[106:107], v[142:143], -v[120:121]
	;; [unrolled: 1-line block ×3, first 2 shown]
	v_fma_f64 v[96:97], v[110:111], -0.5, v[96:97]
	v_fma_f64 v[14:15], v[100:101], s[14:15], v[14:15]
	v_fma_f64 v[84:85], v[122:123], v[74:75], v[202:203]
	;; [unrolled: 1-line block ×6, first 2 shown]
	v_fma_f64 v[52:53], v[52:53], v[196:197], -v[90:91]
	v_fma_f64 v[16:17], v[104:105], s[6:7], v[102:103]
	v_add_f64 v[90:91], v[106:107], v[108:109]
	v_fma_f64 v[108:109], v[104:105], s[14:15], v[96:97]
	v_add_f64 v[110:111], v[120:121], -v[142:143]
	v_add_f64 v[112:113], v[124:125], -v[128:129]
	v_fma_f64 v[14:15], v[104:105], s[10:11], v[14:15]
	v_fma_f64 v[96:97], v[104:105], s[2:3], v[96:97]
	v_add_f64 v[102:103], v[98:99], v[84:85]
	v_add_f64 v[106:107], v[74:75], v[78:79]
	v_fma_f64 v[16:17], v[90:91], s[4:5], v[16:17]
	v_fma_f64 v[108:109], v[100:101], s[6:7], v[108:109]
	;; [unrolled: 1-line block ×3, first 2 shown]
	v_add_f64 v[110:111], v[110:111], v[112:113]
	v_fma_f64 v[14:15], v[90:91], s[4:5], v[14:15]
	v_fma_f64 v[90:91], v[100:101], s[10:11], v[96:97]
	v_add_f64 v[100:101], v[84:85], v[86:87]
	v_add_f64 v[102:103], v[102:103], v[74:75]
	v_fma_f64 v[104:105], v[106:107], -0.5, v[98:99]
	v_add_f64 v[106:107], v[38:39], -v[62:63]
	v_add_f64 v[112:113], v[58:59], -v[60:61]
	v_fma_f64 v[108:109], v[110:111], s[4:5], v[108:109]
	v_add_f64 v[116:117], v[84:85], -v[74:75]
	v_add_f64 v[118:119], v[86:87], -v[78:79]
	v_fma_f64 v[110:111], v[110:111], s[4:5], v[90:91]
	v_fma_f64 v[90:91], v[100:101], -0.5, v[98:99]
	v_add_f64 v[96:97], v[102:103], v[78:79]
	v_fma_f64 v[102:103], v[106:107], s[2:3], v[104:105]
	v_add_f64 v[114:115], v[66:67], v[68:69]
	v_fma_f64 v[104:105], v[106:107], s[14:15], v[104:105]
	v_add_f64 v[122:123], v[74:75], -v[84:85]
	v_add_f64 v[116:117], v[116:117], v[118:119]
	v_add_f64 v[126:127], v[78:79], -v[86:87]
	v_fma_f64 v[118:119], v[112:113], s[14:15], v[90:91]
	v_fma_f64 v[90:91], v[112:113], s[2:3], v[90:91]
	;; [unrolled: 1-line block ×3, first 2 shown]
	v_fma_f64 v[102:103], v[114:115], -0.5, v[92:93]
	v_add_f64 v[114:115], v[34:35], -v[26:27]
	v_fma_f64 v[104:105], v[112:113], s[10:11], v[104:105]
	v_add_f64 v[132:133], v[36:37], -v[22:23]
	v_add_f64 v[122:123], v[122:123], v[126:127]
	v_add_f64 v[134:135], v[70:71], -v[66:67]
	v_fma_f64 v[90:91], v[106:107], s[10:11], v[90:91]
	v_add_f64 v[140:141], v[72:73], -v[68:69]
	v_add_f64 v[112:113], v[70:71], v[72:73]
	v_fma_f64 v[130:131], v[114:115], s[2:3], v[102:103]
	v_fma_f64 v[118:119], v[106:107], s[6:7], v[118:119]
	;; [unrolled: 1-line block ×4, first 2 shown]
	v_add_f64 v[100:101], v[92:93], v[70:71]
	v_fma_f64 v[116:117], v[122:123], s[4:5], v[90:91]
	v_add_f64 v[90:91], v[32:33], v[28:29]
	v_add_f64 v[126:127], v[134:135], v[140:141]
	v_fma_f64 v[106:107], v[132:133], s[6:7], v[130:131]
	v_add_f64 v[130:131], v[30:31], v[24:25]
	v_fma_f64 v[92:93], v[112:113], -0.5, v[92:93]
	v_fma_f64 v[112:113], v[122:123], s[4:5], v[118:119]
	v_fma_f64 v[102:103], v[114:115], s[14:15], v[102:103]
	v_add_f64 v[122:123], v[66:67], -v[70:71]
	v_add_f64 v[134:135], v[68:69], -v[72:73]
	v_add_f64 v[140:141], v[94:95], v[30:31]
	v_fma_f64 v[90:91], v[90:91], -0.5, v[94:95]
	v_add_f64 v[152:153], v[10:11], -v[20:21]
	v_add_f64 v[154:155], v[18:19], -v[8:9]
	v_fma_f64 v[94:95], v[130:131], -0.5, v[94:95]
	v_add_f64 v[100:101], v[100:101], v[66:67]
	v_fma_f64 v[118:119], v[132:133], s[14:15], v[92:93]
	v_fma_f64 v[102:103], v[132:133], s[10:11], v[102:103]
	v_add_f64 v[122:123], v[122:123], v[134:135]
	v_fma_f64 v[92:93], v[132:133], s[2:3], v[92:93]
	v_add_f64 v[130:131], v[140:141], v[32:33]
	v_fma_f64 v[132:133], v[152:153], s[2:3], v[90:91]
	v_add_f64 v[134:135], v[30:31], -v[32:33]
	v_add_f64 v[140:141], v[24:25], -v[28:29]
	v_fma_f64 v[90:91], v[152:153], s[14:15], v[90:91]
	v_fma_f64 v[156:157], v[154:155], s[14:15], v[94:95]
	v_add_f64 v[158:159], v[32:33], -v[30:31]
	v_add_f64 v[160:161], v[28:29], -v[24:25]
	v_fma_f64 v[94:95], v[154:155], s[2:3], v[94:95]
	v_add_f64 v[12:13], v[12:13], v[124:125]
	v_add_f64 v[100:101], v[100:101], v[68:69]
	v_fma_f64 v[118:119], v[114:115], s[6:7], v[118:119]
	v_fma_f64 v[92:93], v[114:115], s[10:11], v[92:93]
	v_add_f64 v[114:115], v[130:131], v[28:29]
	v_fma_f64 v[130:131], v[154:155], s[6:7], v[132:133]
	v_add_f64 v[132:133], v[134:135], v[140:141]
	v_fma_f64 v[90:91], v[154:155], s[10:11], v[90:91]
	v_fma_f64 v[134:135], v[152:153], s[6:7], v[156:157]
	v_add_f64 v[140:141], v[158:159], v[160:161]
	v_fma_f64 v[94:95], v[152:153], s[10:11], v[94:95]
	v_add_f64 v[12:13], v[12:13], v[128:129]
	v_add_f64 v[96:97], v[96:97], v[86:87]
	;; [unrolled: 1-line block ×3, first 2 shown]
	v_fma_f64 v[106:107], v[126:127], s[4:5], v[106:107]
	v_fma_f64 v[102:103], v[126:127], s[4:5], v[102:103]
	v_add_f64 v[114:115], v[114:115], v[24:25]
	v_fma_f64 v[126:127], v[132:133], s[4:5], v[130:131]
	v_fma_f64 v[118:119], v[122:123], s[4:5], v[118:119]
	v_fma_f64 v[122:123], v[122:123], s[4:5], v[92:93]
	v_fma_f64 v[130:131], v[132:133], s[4:5], v[90:91]
	v_fma_f64 v[132:133], v[140:141], s[4:5], v[134:135]
	v_fma_f64 v[134:135], v[140:141], s[4:5], v[94:95]
	v_mov_b32_e32 v94, 3
	v_mul_u32_u24_e32 v90, 0x1b8, v148
	v_lshlrev_b32_sdwa v91, v94, v149 dst_sel:DWORD dst_unused:UNUSED_PAD src0_sel:DWORD src1_sel:BYTE_0
	v_add3_u32 v91, 0, v90, v91
	ds_write2_b64 v91, v[12:13], v[16:17] offset1:11
	ds_write2_b64 v91, v[108:109], v[110:111] offset0:22 offset1:33
	ds_write_b64 v91, v[14:15] offset:352
	v_mul_u32_u24_e32 v12, 0x1b8, v150
	v_lshlrev_b32_sdwa v13, v94, v151 dst_sel:DWORD dst_unused:UNUSED_PAD src0_sel:DWORD src1_sel:BYTE_0
	v_add3_u32 v92, 0, v12, v13
	v_mul_u32_u24_e32 v12, 0x1b8, v218
	v_lshlrev_b32_sdwa v13, v94, v219 dst_sel:DWORD dst_unused:UNUSED_PAD src0_sel:DWORD src1_sel:BYTE_0
	v_add3_u32 v93, 0, v12, v13
	;; [unrolled: 3-line block ×3, first 2 shown]
	v_lshl_add_u32 v90, v222, 3, 0
	ds_write2_b64 v92, v[96:97], v[98:99] offset1:11
	ds_write2_b64 v92, v[112:113], v[116:117] offset0:22 offset1:33
	ds_write_b64 v92, v[104:105] offset:352
	ds_write2_b64 v93, v[100:101], v[106:107] offset1:11
	ds_write2_b64 v93, v[118:119], v[122:123] offset0:22 offset1:33
	ds_write_b64 v93, v[102:103] offset:352
	;; [unrolled: 3-line block ×3, first 2 shown]
	s_and_saveexec_b64 s[16:17], vcc
	s_cbranch_execz .LBB0_23
; %bb.22:
	v_add_f64 v[14:15], v[46:47], v[48:49]
	v_add_f64 v[12:13], v[54:55], v[56:57]
	v_add_f64 v[16:17], v[42:43], -v[52:53]
	v_add_f64 v[97:98], v[64:65], v[54:55]
	v_add_f64 v[95:96], v[44:45], -v[40:41]
	v_add_f64 v[99:100], v[48:49], -v[56:57]
	;; [unrolled: 1-line block ×4, first 2 shown]
	v_fma_f64 v[14:15], v[14:15], -0.5, v[64:65]
	v_fma_f64 v[12:13], v[12:13], -0.5, v[64:65]
	v_add_f64 v[64:65], v[46:47], -v[54:55]
	v_add_f64 v[97:98], v[97:98], v[46:47]
	v_fma_f64 v[107:108], v[16:17], s[2:3], v[14:15]
	v_fma_f64 v[105:106], v[95:96], s[2:3], v[12:13]
	;; [unrolled: 1-line block ×4, first 2 shown]
	v_add_f64 v[64:65], v[64:65], v[99:100]
	v_add_f64 v[99:100], v[101:102], v[103:104]
	;; [unrolled: 1-line block ×3, first 2 shown]
	v_fma_f64 v[103:104], v[95:96], s[6:7], v[107:108]
	v_fma_f64 v[101:102], v[16:17], s[10:11], v[105:106]
	;; [unrolled: 1-line block ×4, first 2 shown]
	v_add_f64 v[16:17], v[97:98], v[56:57]
	v_fma_f64 v[97:98], v[99:100], s[4:5], v[103:104]
	v_fma_f64 v[95:96], v[64:65], s[4:5], v[101:102]
	;; [unrolled: 1-line block ×4, first 2 shown]
	v_add_u32_e32 v64, 0x2000, v90
	ds_write2_b64 v64, v[16:17], v[97:98] offset0:76 offset1:87
	ds_write2_b64 v64, v[12:13], v[95:96] offset0:98 offset1:109
	ds_write_b64 v90, v[14:15] offset:9152
.LBB0_23:
	s_or_b64 exec, exec, s[16:17]
	v_add_f64 v[12:13], v[82:83], v[80:81]
	v_add_f64 v[64:65], v[88:89], v[76:77]
	;; [unrolled: 1-line block ×3, first 2 shown]
	v_add_f64 v[16:17], v[142:143], -v[128:129]
	v_add_f64 v[95:96], v[120:121], -v[124:125]
	;; [unrolled: 1-line block ×5, first 2 shown]
	v_fma_f64 v[12:13], v[12:13], -0.5, v[4:5]
	v_fma_f64 v[4:5], v[64:65], -0.5, v[4:5]
	v_add_f64 v[101:102], v[80:81], -v[76:77]
	v_add_f64 v[64:65], v[58:59], v[60:61]
	v_add_f64 v[14:15], v[14:15], v[82:83]
	v_add_f64 v[82:83], v[84:85], -v[86:87]
	v_add_f64 v[97:98], v[97:98], v[99:100]
	v_add_f64 v[103:104], v[6:7], v[38:39]
	v_fma_f64 v[84:85], v[16:17], s[14:15], v[12:13]
	v_fma_f64 v[12:13], v[16:17], s[2:3], v[12:13]
	;; [unrolled: 1-line block ×4, first 2 shown]
	v_add_f64 v[86:87], v[38:39], v[62:63]
	v_add_f64 v[14:15], v[14:15], v[80:81]
	v_fma_f64 v[64:65], v[64:65], -0.5, v[6:7]
	v_add_f64 v[103:104], v[103:104], v[58:59]
	v_fma_f64 v[80:81], v[95:96], s[10:11], v[84:85]
	v_fma_f64 v[12:13], v[95:96], s[6:7], v[12:13]
	v_add_f64 v[84:85], v[88:89], v[101:102]
	v_fma_f64 v[88:89], v[16:17], s[10:11], v[99:100]
	v_fma_f64 v[4:5], v[16:17], s[6:7], v[4:5]
	v_add_f64 v[76:77], v[14:15], v[76:77]
	v_add_f64 v[14:15], v[74:75], -v[78:79]
	v_add_f64 v[16:17], v[36:37], v[22:23]
	v_fma_f64 v[80:81], v[97:98], s[4:5], v[80:81]
	v_fma_f64 v[97:98], v[97:98], s[4:5], v[12:13]
	;; [unrolled: 1-line block ×4, first 2 shown]
	v_add_f64 v[78:79], v[38:39], -v[58:59]
	v_add_f64 v[88:89], v[62:63], -v[60:61]
	v_fma_f64 v[84:85], v[84:85], s[4:5], v[4:5]
	v_fma_f64 v[4:5], v[86:87], -0.5, v[6:7]
	v_add_f64 v[95:96], v[103:104], v[60:61]
	v_fma_f64 v[16:17], v[16:17], -0.5, v[0:1]
	v_fma_f64 v[6:7], v[14:15], s[10:11], v[12:13]
	v_add_f64 v[12:13], v[0:1], v[34:35]
	v_add_f64 v[70:71], v[70:71], -v[72:73]
	v_add_f64 v[72:73], v[78:79], v[88:89]
	v_add_f64 v[38:39], v[58:59], -v[38:39]
	v_fma_f64 v[78:79], v[14:15], s[2:3], v[4:5]
	v_add_f64 v[58:59], v[60:61], -v[62:63]
	v_fma_f64 v[4:5], v[14:15], s[14:15], v[4:5]
	v_add_f64 v[86:87], v[95:96], v[62:63]
	v_fma_f64 v[64:65], v[82:83], s[2:3], v[64:65]
	v_add_f64 v[12:13], v[12:13], v[36:37]
	v_fma_f64 v[60:61], v[70:71], s[14:15], v[16:17]
	v_add_f64 v[62:63], v[66:67], -v[68:69]
	v_add_f64 v[66:67], v[34:35], -v[36:37]
	;; [unrolled: 1-line block ×3, first 2 shown]
	v_add_f64 v[38:39], v[38:39], v[58:59]
	v_fma_f64 v[4:5], v[82:83], s[6:7], v[4:5]
	v_fma_f64 v[14:15], v[14:15], s[6:7], v[64:65]
	v_add_f64 v[64:65], v[34:35], v[26:27]
	v_fma_f64 v[78:79], v[82:83], s[10:11], v[78:79]
	v_add_f64 v[12:13], v[12:13], v[22:23]
	;; [unrolled: 2-line block ×3, first 2 shown]
	v_fma_f64 v[68:69], v[72:73], s[4:5], v[6:7]
	v_fma_f64 v[82:83], v[38:39], s[4:5], v[4:5]
	v_add_f64 v[4:5], v[18:19], v[8:9]
	v_fma_f64 v[6:7], v[70:71], s[2:3], v[16:17]
	v_add_f64 v[16:17], v[10:11], v[20:21]
	v_fma_f64 v[0:1], v[64:65], -0.5, v[0:1]
	v_fma_f64 v[72:73], v[72:73], s[4:5], v[14:15]
	v_add_f64 v[88:89], v[12:13], v[26:27]
	v_add_f64 v[14:15], v[36:37], -v[34:35]
	v_add_f64 v[22:23], v[22:23], -v[26:27]
	v_add_f64 v[26:27], v[2:3], v[10:11]
	v_fma_f64 v[4:5], v[4:5], -0.5, v[2:3]
	v_add_f64 v[24:25], v[30:31], -v[24:25]
	v_add_f64 v[28:29], v[32:33], -v[28:29]
	v_fma_f64 v[2:3], v[16:17], -0.5, v[2:3]
	v_fma_f64 v[12:13], v[62:63], s[2:3], v[0:1]
	v_fma_f64 v[0:1], v[62:63], s[14:15], v[0:1]
	v_add_f64 v[14:15], v[14:15], v[22:23]
	v_add_f64 v[16:17], v[26:27], v[18:19]
	v_add_f64 v[26:27], v[10:11], -v[18:19]
	v_fma_f64 v[22:23], v[24:25], s[14:15], v[4:5]
	v_add_f64 v[30:31], v[20:21], -v[8:9]
	v_fma_f64 v[4:5], v[24:25], s[2:3], v[4:5]
	v_fma_f64 v[32:33], v[28:29], s[2:3], v[2:3]
	v_add_f64 v[10:11], v[18:19], -v[10:11]
	v_add_f64 v[18:19], v[8:9], -v[20:21]
	v_fma_f64 v[2:3], v[28:29], s[14:15], v[2:3]
	v_fma_f64 v[6:7], v[62:63], s[6:7], v[6:7]
	;; [unrolled: 1-line block ×4, first 2 shown]
	v_add_f64 v[8:9], v[16:17], v[8:9]
	v_fma_f64 v[16:17], v[28:29], s[10:11], v[22:23]
	v_add_f64 v[22:23], v[26:27], v[30:31]
	v_fma_f64 v[4:5], v[28:29], s[6:7], v[4:5]
	v_fma_f64 v[26:27], v[24:25], s[10:11], v[32:33]
	v_add_f64 v[10:11], v[10:11], v[18:19]
	v_fma_f64 v[2:3], v[24:25], s[6:7], v[2:3]
	v_fma_f64 v[95:96], v[60:61], s[4:5], v[58:59]
	;; [unrolled: 1-line block ×3, first 2 shown]
	v_lshl_add_u32 v60, v136, 3, 0
	v_add_u32_e32 v64, 0xc00, v137
	v_add_u32_e32 v61, 0x1000, v137
	;; [unrolled: 1-line block ×7, first 2 shown]
	v_fma_f64 v[78:79], v[38:39], s[4:5], v[78:79]
	v_fma_f64 v[99:100], v[14:15], s[4:5], v[12:13]
	;; [unrolled: 1-line block ×3, first 2 shown]
	v_add_f64 v[103:104], v[8:9], v[20:21]
	v_fma_f64 v[105:106], v[22:23], s[4:5], v[16:17]
	v_fma_f64 v[107:108], v[22:23], s[4:5], v[4:5]
	;; [unrolled: 1-line block ×4, first 2 shown]
	s_waitcnt lgkmcnt(0)
	; wave barrier
	s_waitcnt lgkmcnt(0)
	ds_read2_b64 v[4:7], v137 offset1:55
	ds_read2_b64 v[0:3], v137 offset0:110 offset1:165
	ds_read_b64 v[58:59], v60 offset:2640
	ds_read2_b64 v[32:35], v64 offset0:111 offset1:166
	ds_read2_b64 v[16:19], v61 offset0:93 offset1:148
	;; [unrolled: 1-line block ×8, first 2 shown]
	s_waitcnt lgkmcnt(0)
	; wave barrier
	s_waitcnt lgkmcnt(0)
	ds_write2_b64 v91, v[76:77], v[80:81] offset1:11
	ds_write2_b64 v91, v[74:75], v[84:85] offset0:22 offset1:33
	ds_write_b64 v91, v[97:98] offset:352
	ds_write2_b64 v92, v[86:87], v[68:69] offset1:11
	ds_write2_b64 v92, v[78:79], v[82:83] offset0:22 offset1:33
	ds_write_b64 v92, v[72:73] offset:352
	;; [unrolled: 3-line block ×4, first 2 shown]
	s_and_saveexec_b64 s[2:3], vcc
	s_cbranch_execz .LBB0_25
; %bb.24:
	v_add_f64 v[68:69], v[44:45], v[40:41]
	v_add_f64 v[54:55], v[54:55], -v[56:57]
	v_add_f64 v[56:57], v[42:43], v[52:53]
	v_add_f64 v[70:71], v[50:51], v[42:43]
	v_add_f64 v[46:47], v[46:47], -v[48:49]
	s_mov_b32 s4, 0x134454ff
	s_mov_b32 s5, 0x3fee6f0e
	;; [unrolled: 1-line block ×3, first 2 shown]
	v_fma_f64 v[48:49], v[68:69], -0.5, v[50:51]
	v_add_f64 v[68:69], v[42:43], -v[44:45]
	v_fma_f64 v[50:51], v[56:57], -0.5, v[50:51]
	v_add_f64 v[56:57], v[52:53], -v[40:41]
	v_add_f64 v[42:43], v[44:45], -v[42:43]
	v_add_f64 v[44:45], v[70:71], v[44:45]
	s_mov_b32 s10, s4
	v_add_f64 v[72:73], v[40:41], -v[52:53]
	v_fma_f64 v[70:71], v[54:55], s[4:5], v[48:49]
	v_fma_f64 v[48:49], v[54:55], s[10:11], v[48:49]
	v_fma_f64 v[74:75], v[46:47], s[10:11], v[50:51]
	v_fma_f64 v[50:51], v[46:47], s[4:5], v[50:51]
	s_mov_b32 s6, 0x4755a5e
	s_mov_b32 s7, 0x3fe2cf23
	v_add_f64 v[56:57], v[68:69], v[56:57]
	v_add_f64 v[40:41], v[44:45], v[40:41]
	v_fma_f64 v[44:45], v[46:47], s[6:7], v[70:71]
	s_mov_b32 s5, 0xbfe2cf23
	s_mov_b32 s4, s6
	v_fma_f64 v[68:69], v[54:55], s[6:7], v[74:75]
	v_add_f64 v[42:43], v[42:43], v[72:73]
	v_fma_f64 v[50:51], v[54:55], s[4:5], v[50:51]
	v_fma_f64 v[46:47], v[46:47], s[4:5], v[48:49]
	s_mov_b32 s4, 0x372fe950
	s_mov_b32 s5, 0x3fd3c6ef
	v_add_f64 v[40:41], v[40:41], v[52:53]
	v_fma_f64 v[44:45], v[56:57], s[4:5], v[44:45]
	v_fma_f64 v[48:49], v[42:43], s[4:5], v[68:69]
	;; [unrolled: 1-line block ×4, first 2 shown]
	v_add_u32_e32 v50, 0x2000, v90
	ds_write2_b64 v50, v[40:41], v[44:45] offset0:76 offset1:87
	ds_write2_b64 v50, v[48:49], v[42:43] offset0:98 offset1:109
	ds_write_b64 v90, v[46:47] offset:9152
.LBB0_25:
	s_or_b64 exec, exec, s[2:3]
	v_mul_u32_u24_e32 v40, 6, v136
	v_lshlrev_b32_e32 v56, 4, v40
	s_waitcnt lgkmcnt(0)
	; wave barrier
	s_waitcnt lgkmcnt(0)
	global_load_dwordx4 v[40:43], v56, s[8:9] offset:704
	global_load_dwordx4 v[44:47], v56, s[8:9] offset:720
	;; [unrolled: 1-line block ×6, first 2 shown]
	s_movk_i32 s2, 0x95
	v_mul_lo_u16_sdwa v56, v146, s2 dst_sel:DWORD dst_unused:UNUSED_PAD src0_sel:BYTE_0 src1_sel:DWORD
	v_lshrrev_b16_e32 v56, 13, v56
	v_mul_lo_u16_e32 v56, 55, v56
	v_sub_u16_e32 v56, v146, v56
	v_and_b32_e32 v194, 0xff, v56
	v_mul_u32_u24_e32 v56, 6, v194
	v_lshlrev_b32_e32 v56, 4, v56
	global_load_dwordx4 v[76:79], v56, s[8:9] offset:704
	global_load_dwordx4 v[80:83], v56, s[8:9] offset:720
	;; [unrolled: 1-line block ×6, first 2 shown]
	ds_read2_b64 v[100:103], v137 offset1:55
	ds_read2_b64 v[104:107], v137 offset0:110 offset1:165
	ds_read_b64 v[56:57], v60 offset:2640
	ds_read2_b64 v[108:111], v64 offset0:111 offset1:166
	ds_read2_b64 v[112:115], v61 offset0:93 offset1:148
	;; [unrolled: 1-line block ×8, first 2 shown]
	s_mov_b32 s4, 0x37e14327
	s_mov_b32 s2, 0x36b3c0b5
	;; [unrolled: 1-line block ×20, first 2 shown]
	s_waitcnt lgkmcnt(0)
	; wave barrier
	s_waitcnt vmcnt(11) lgkmcnt(0)
	v_mul_f64 v[148:149], v[106:107], v[42:43]
	v_mul_f64 v[150:151], v[2:3], v[42:43]
	s_waitcnt vmcnt(10)
	v_mul_f64 v[152:153], v[56:57], v[46:47]
	v_mul_f64 v[154:155], v[58:59], v[46:47]
	s_waitcnt vmcnt(7)
	v_mul_f64 v[164:165], v[116:117], v[70:71]
	v_mul_f64 v[166:167], v[36:37], v[70:71]
	s_waitcnt vmcnt(6)
	v_mul_f64 v[168:169], v[122:123], v[74:75]
	v_mul_f64 v[170:171], v[14:15], v[74:75]
	;; [unrolled: 1-line block ×16, first 2 shown]
	s_waitcnt vmcnt(5)
	v_mul_f64 v[184:185], v[126:127], v[78:79]
	v_mul_f64 v[78:79], v[26:27], v[78:79]
	s_waitcnt vmcnt(4)
	v_mul_f64 v[186:187], v[130:131], v[82:83]
	v_mul_f64 v[82:83], v[30:31], v[82:83]
	;; [unrolled: 3-line block ×3, first 2 shown]
	v_fma_f64 v[2:3], v[2:3], v[40:41], v[148:149]
	v_fma_f64 v[106:107], v[106:107], v[40:41], -v[150:151]
	v_fma_f64 v[58:59], v[58:59], v[44:45], v[152:153]
	v_fma_f64 v[56:57], v[56:57], v[44:45], -v[154:155]
	;; [unrolled: 2-line block ×4, first 2 shown]
	s_waitcnt vmcnt(2)
	v_mul_f64 v[190:191], v[134:135], v[90:91]
	v_mul_f64 v[90:91], v[22:23], v[90:91]
	v_fma_f64 v[32:33], v[32:33], v[48:49], v[156:157]
	v_fma_f64 v[108:109], v[108:109], v[48:49], -v[158:159]
	v_fma_f64 v[18:19], v[18:19], v[52:53], v[160:161]
	v_fma_f64 v[114:115], v[114:115], v[52:53], -v[162:163]
	;; [unrolled: 2-line block ×7, first 2 shown]
	v_fma_f64 v[52:53], v[126:127], v[76:77], -v[78:79]
	v_fma_f64 v[30:31], v[30:31], v[80:81], v[186:187]
	v_fma_f64 v[54:55], v[130:131], v[80:81], -v[82:83]
	v_fma_f64 v[16:17], v[16:17], v[84:85], v[188:189]
	v_fma_f64 v[68:69], v[112:113], v[84:85], -v[86:87]
	v_add_f64 v[78:79], v[2:3], v[14:15]
	v_add_f64 v[80:81], v[106:107], v[122:123]
	;; [unrolled: 1-line block ×4, first 2 shown]
	v_mul_f64 v[182:183], v[140:141], v[74:75]
	v_mul_f64 v[74:75], v[8:9], v[74:75]
	s_waitcnt vmcnt(1)
	v_mul_f64 v[192:193], v[120:121], v[94:95]
	v_mul_f64 v[94:95], v[12:13], v[94:95]
	v_fma_f64 v[22:23], v[22:23], v[88:89], v[190:191]
	v_fma_f64 v[70:71], v[134:135], v[88:89], -v[90:91]
	v_add_f64 v[2:3], v[2:3], -v[14:15]
	v_add_f64 v[14:15], v[106:107], -v[122:123]
	;; [unrolled: 1-line block ×4, first 2 shown]
	v_add_f64 v[58:59], v[32:33], v[18:19]
	v_add_f64 v[86:87], v[108:109], v[114:115]
	v_add_f64 v[18:19], v[18:19], -v[32:33]
	v_add_f64 v[32:33], v[114:115], -v[108:109]
	v_add_f64 v[88:89], v[82:83], v[78:79]
	v_add_f64 v[90:91], v[84:85], v[80:81]
	v_fma_f64 v[8:9], v[8:9], v[72:73], v[182:183]
	v_fma_f64 v[50:51], v[140:141], v[72:73], -v[74:75]
	v_fma_f64 v[26:27], v[26:27], v[76:77], v[184:185]
	v_fma_f64 v[12:13], v[12:13], v[92:93], v[192:193]
	v_fma_f64 v[72:73], v[120:121], v[92:93], -v[94:95]
	s_waitcnt vmcnt(0)
	v_mul_f64 v[74:75], v[142:143], v[98:99]
	v_mul_f64 v[76:77], v[10:11], v[98:99]
	v_add_f64 v[92:93], v[82:83], -v[78:79]
	v_add_f64 v[94:95], v[84:85], -v[80:81]
	;; [unrolled: 1-line block ×6, first 2 shown]
	v_add_f64 v[98:99], v[18:19], v[36:37]
	v_add_f64 v[106:107], v[32:33], v[56:57]
	v_add_f64 v[108:109], v[18:19], -v[36:37]
	v_add_f64 v[110:111], v[32:33], -v[56:57]
	v_add_f64 v[58:59], v[58:59], v[88:89]
	v_add_f64 v[86:87], v[86:87], v[90:91]
	v_add_f64 v[36:37], v[36:37], -v[2:3]
	v_add_f64 v[56:57], v[56:57], -v[14:15]
	;; [unrolled: 1-line block ×4, first 2 shown]
	v_add_f64 v[2:3], v[98:99], v[2:3]
	v_add_f64 v[14:15], v[106:107], v[14:15]
	;; [unrolled: 1-line block ×4, first 2 shown]
	v_mul_f64 v[78:79], v[78:79], s[4:5]
	v_mul_f64 v[80:81], v[80:81], s[4:5]
	;; [unrolled: 1-line block ×8, first 2 shown]
	v_fma_f64 v[58:59], v[58:59], s[14:15], v[4:5]
	v_fma_f64 v[86:87], v[86:87], s[14:15], v[88:89]
	;; [unrolled: 1-line block ×4, first 2 shown]
	v_fma_f64 v[90:91], v[92:93], s[16:17], -v[90:91]
	v_fma_f64 v[98:99], v[94:95], s[16:17], -v[98:99]
	;; [unrolled: 1-line block ×4, first 2 shown]
	v_fma_f64 v[92:93], v[18:19], s[20:21], v[100:101]
	v_fma_f64 v[94:95], v[32:33], s[20:21], v[106:107]
	v_fma_f64 v[36:37], v[36:37], s[6:7], -v[100:101]
	v_fma_f64 v[56:57], v[56:57], s[6:7], -v[106:107]
	;; [unrolled: 1-line block ×4, first 2 shown]
	v_add_f64 v[82:83], v[82:83], v[58:59]
	v_add_f64 v[84:85], v[84:85], v[86:87]
	;; [unrolled: 1-line block ×6, first 2 shown]
	v_fma_f64 v[80:81], v[14:15], s[22:23], v[94:95]
	v_fma_f64 v[86:87], v[2:3], s[22:23], v[92:93]
	;; [unrolled: 1-line block ×7, first 2 shown]
	v_fma_f64 v[36:37], v[142:143], v[96:97], -v[76:77]
	v_add_f64 v[56:57], v[80:81], v[82:83]
	v_add_f64 v[74:75], v[84:85], -v[86:87]
	v_add_f64 v[76:77], v[32:33], v[58:59]
	v_add_f64 v[92:93], v[78:79], -v[18:19]
	v_add_f64 v[94:95], v[90:91], -v[14:15]
	v_add_f64 v[96:97], v[2:3], v[98:99]
	v_add_f64 v[14:15], v[14:15], v[90:91]
	v_add_f64 v[90:91], v[98:99], -v[2:3]
	v_add_f64 v[2:3], v[58:59], -v[32:33]
	v_add_f64 v[58:59], v[18:19], v[78:79]
	v_add_f64 v[18:19], v[24:25], v[8:9]
	v_add_f64 v[32:33], v[40:41], v[50:51]
	v_add_f64 v[8:9], v[24:25], -v[8:9]
	v_add_f64 v[24:25], v[40:41], -v[50:51]
	v_add_f64 v[40:41], v[28:29], v[38:39]
	v_add_f64 v[50:51], v[42:43], v[48:49]
	v_add_f64 v[28:29], v[28:29], -v[38:39]
	v_add_f64 v[38:39], v[42:43], -v[48:49]
	v_add_f64 v[42:43], v[34:35], v[20:21]
	v_add_f64 v[48:49], v[44:45], v[46:47]
	;; [unrolled: 4-line block ×3, first 2 shown]
	v_add_f64 v[78:79], v[40:41], -v[18:19]
	v_add_f64 v[98:99], v[50:51], -v[32:33]
	;; [unrolled: 1-line block ×6, first 2 shown]
	v_add_f64 v[100:101], v[20:21], v[28:29]
	v_add_f64 v[106:107], v[34:35], v[38:39]
	v_add_f64 v[108:109], v[20:21], -v[28:29]
	v_add_f64 v[110:111], v[34:35], -v[38:39]
	v_add_f64 v[42:43], v[42:43], v[44:45]
	v_add_f64 v[44:45], v[48:49], v[46:47]
	v_add_f64 v[28:29], v[28:29], -v[8:9]
	v_add_f64 v[38:39], v[38:39], -v[24:25]
	;; [unrolled: 1-line block ×4, first 2 shown]
	v_add_f64 v[8:9], v[100:101], v[8:9]
	v_add_f64 v[24:25], v[106:107], v[24:25]
	;; [unrolled: 1-line block ×4, first 2 shown]
	v_mul_f64 v[18:19], v[18:19], s[4:5]
	v_mul_f64 v[32:33], v[32:33], s[4:5]
	;; [unrolled: 1-line block ×8, first 2 shown]
	v_fma_f64 v[42:43], v[42:43], s[14:15], v[6:7]
	v_fma_f64 v[44:45], v[44:45], s[14:15], v[46:47]
	;; [unrolled: 1-line block ×4, first 2 shown]
	v_fma_f64 v[48:49], v[78:79], s[16:17], -v[48:49]
	v_fma_f64 v[100:101], v[98:99], s[16:17], -v[100:101]
	;; [unrolled: 1-line block ×4, first 2 shown]
	v_fma_f64 v[78:79], v[20:21], s[20:21], v[102:103]
	v_fma_f64 v[98:99], v[34:35], s[20:21], v[106:107]
	v_fma_f64 v[28:29], v[28:29], s[6:7], -v[102:103]
	v_fma_f64 v[38:39], v[38:39], s[6:7], -v[106:107]
	v_fma_f64 v[20:21], v[20:21], s[24:25], -v[108:109]
	v_fma_f64 v[34:35], v[34:35], s[24:25], -v[110:111]
	v_add_f64 v[40:41], v[40:41], v[42:43]
	v_add_f64 v[50:51], v[50:51], v[44:45]
	;; [unrolled: 1-line block ×6, first 2 shown]
	v_fma_f64 v[42:43], v[24:25], s[22:23], v[98:99]
	v_fma_f64 v[44:45], v[8:9], s[22:23], v[78:79]
	;; [unrolled: 1-line block ×6, first 2 shown]
	v_add_f64 v[28:29], v[82:83], -v[80:81]
	v_add_f64 v[78:79], v[86:87], v[84:85]
	v_add_f64 v[38:39], v[42:43], v[40:41]
	v_add_f64 v[80:81], v[50:51], -v[44:45]
	v_add_f64 v[82:83], v[34:35], v[18:19]
	v_add_f64 v[84:85], v[32:33], -v[20:21]
	v_add_f64 v[86:87], v[48:49], -v[24:25]
	v_add_f64 v[98:99], v[8:9], v[100:101]
	v_add_f64 v[24:25], v[24:25], v[48:49]
	v_add_f64 v[48:49], v[100:101], -v[8:9]
	v_add_f64 v[8:9], v[18:19], -v[34:35]
	v_add_f64 v[100:101], v[20:21], v[32:33]
	v_add_f64 v[18:19], v[26:27], v[10:11]
	;; [unrolled: 1-line block ×5, first 2 shown]
	v_add_f64 v[10:11], v[26:27], -v[10:11]
	v_add_f64 v[26:27], v[52:53], -v[36:37]
	;; [unrolled: 1-line block ×4, first 2 shown]
	v_add_f64 v[36:37], v[16:17], v[22:23]
	v_add_f64 v[52:53], v[68:69], v[70:71]
	v_add_f64 v[16:17], v[22:23], -v[16:17]
	v_add_f64 v[22:23], v[70:71], -v[68:69]
	v_add_f64 v[54:55], v[32:33], v[18:19]
	v_add_f64 v[68:69], v[34:35], v[20:21]
	v_add_f64 v[70:71], v[32:33], -v[18:19]
	v_add_f64 v[72:73], v[34:35], -v[20:21]
	;; [unrolled: 1-line block ×6, first 2 shown]
	v_add_f64 v[102:103], v[16:17], v[12:13]
	v_add_f64 v[106:107], v[22:23], v[30:31]
	v_add_f64 v[110:111], v[22:23], -v[30:31]
	v_add_f64 v[36:37], v[36:37], v[54:55]
	v_add_f64 v[108:109], v[16:17], -v[12:13]
	;; [unrolled: 2-line block ×3, first 2 shown]
	v_add_f64 v[30:31], v[30:31], -v[26:27]
	v_add_f64 v[16:17], v[10:11], -v[16:17]
	v_add_f64 v[22:23], v[26:27], -v[22:23]
	v_add_f64 v[10:11], v[102:103], v[10:11]
	v_add_f64 v[26:27], v[106:107], v[26:27]
	;; [unrolled: 1-line block ×3, first 2 shown]
	v_mul_f64 v[18:19], v[18:19], s[4:5]
	v_mul_f64 v[20:21], v[20:21], s[4:5]
	;; [unrolled: 1-line block ×5, first 2 shown]
	v_add_f64 v[54:55], v[104:105], v[52:53]
	v_mul_f64 v[104:105], v[108:109], s[10:11]
	v_mul_f64 v[108:109], v[12:13], s[6:7]
	;; [unrolled: 1-line block ×3, first 2 shown]
	v_fma_f64 v[36:37], v[36:37], s[14:15], v[0:1]
	v_fma_f64 v[32:33], v[32:33], s[2:3], v[18:19]
	;; [unrolled: 1-line block ×3, first 2 shown]
	v_fma_f64 v[68:69], v[70:71], s[16:17], -v[68:69]
	v_fma_f64 v[102:103], v[72:73], s[16:17], -v[102:103]
	;; [unrolled: 1-line block ×4, first 2 shown]
	v_fma_f64 v[72:73], v[22:23], s[20:21], v[106:107]
	v_fma_f64 v[52:53], v[52:53], s[14:15], v[54:55]
	;; [unrolled: 1-line block ×3, first 2 shown]
	v_fma_f64 v[12:13], v[12:13], s[6:7], -v[104:105]
	v_fma_f64 v[30:31], v[30:31], s[6:7], -v[106:107]
	;; [unrolled: 1-line block ×4, first 2 shown]
	v_add_f64 v[32:33], v[32:33], v[36:37]
	v_add_f64 v[68:69], v[68:69], v[36:37]
	;; [unrolled: 1-line block ×3, first 2 shown]
	v_fma_f64 v[36:37], v[26:27], s[22:23], v[72:73]
	v_add_f64 v[34:35], v[34:35], v[52:53]
	v_add_f64 v[102:103], v[102:103], v[52:53]
	;; [unrolled: 1-line block ×3, first 2 shown]
	v_fma_f64 v[52:53], v[10:11], s[22:23], v[70:71]
	v_fma_f64 v[22:23], v[26:27], s[22:23], v[22:23]
	;; [unrolled: 1-line block ×5, first 2 shown]
	v_add_f64 v[30:31], v[36:37], v[32:33]
	v_add_f64 v[12:13], v[40:41], -v[42:43]
	v_add_f64 v[40:41], v[44:45], v[50:51]
	ds_write2_b64 v137, v[4:5], v[56:57] offset1:55
	ds_write2_b64 v137, v[76:77], v[94:95] offset0:110 offset1:165
	ds_write2_b64 v62, v[14:15], v[2:3] offset0:92 offset1:147
	;; [unrolled: 1-line block ×6, first 2 shown]
	v_add_f64 v[42:43], v[22:23], v[18:19]
	v_add_f64 v[50:51], v[20:21], -v[16:17]
	v_add_f64 v[70:71], v[68:69], -v[26:27]
	v_add_f64 v[72:73], v[10:11], v[102:103]
	v_add_f64 v[26:27], v[26:27], v[68:69]
	v_add_f64 v[68:69], v[102:103], -v[10:11]
	v_add_f64 v[10:11], v[18:19], -v[22:23]
	v_add_f64 v[102:103], v[16:17], v[20:21]
	v_add_f64 v[16:17], v[32:33], -v[36:37]
	v_lshl_add_u32 v56, v194, 3, 0
	v_add_u32_e32 v57, 0x1800, v56
	ds_write2_b64 v57, v[0:1], v[30:31] offset0:2 offset1:57
	ds_write2_b64 v57, v[42:43], v[70:71] offset0:112 offset1:167
	v_add_u32_e32 v70, 0x1c00, v56
	ds_write2_b64 v70, v[26:27], v[10:11] offset0:94 offset1:149
	ds_write_b64 v56, v[16:17] offset:8800
	s_waitcnt lgkmcnt(0)
	; wave barrier
	s_waitcnt lgkmcnt(0)
	ds_read2_b64 v[0:3], v137 offset1:55
	ds_read2_b64 v[4:7], v63 offset0:129 offset1:184
	ds_read2_b64 v[8:11], v67 offset0:75 offset1:130
	;; [unrolled: 1-line block ×6, first 2 shown]
	v_add_u32_e32 v24, 0x400, v60
	v_add_f64 v[44:45], v[34:35], -v[52:53]
	v_add_f64 v[52:53], v[52:53], v[34:35]
	ds_read2_b64 v[24:27], v24 offset0:92 offset1:147
	ds_read2_b64 v[32:35], v61 offset0:93 offset1:148
	;; [unrolled: 1-line block ×3, first 2 shown]
	ds_read_b64 v[42:43], v60 offset:2640
	s_waitcnt lgkmcnt(0)
	; wave barrier
	s_waitcnt lgkmcnt(0)
	ds_write2_b64 v137, v[88:89], v[74:75] offset1:55
	ds_write2_b64 v137, v[92:93], v[96:97] offset0:110 offset1:165
	ds_write2_b64 v62, v[90:91], v[58:59] offset0:92 offset1:147
	;; [unrolled: 1-line block ×9, first 2 shown]
	ds_write_b64 v56, v[52:53] offset:8800
	s_waitcnt lgkmcnt(0)
	; wave barrier
	s_waitcnt lgkmcnt(0)
	s_and_saveexec_b64 s[2:3], s[0:1]
	s_cbranch_execz .LBB0_27
; %bb.26:
	v_add_u32_e32 v44, 0x14a, v136
	v_lshlrev_b32_e32 v40, 1, v44
	v_mov_b32_e32 v41, 0
	v_lshlrev_b64 v[45:46], 4, v[40:41]
	v_mov_b32_e32 v100, s9
	v_add_co_u32_e32 v40, vcc, s8, v45
	v_addc_co_u32_e32 v45, vcc, v100, v46, vcc
	v_add_co_u32_e32 v53, vcc, 0x1760, v40
	v_addc_co_u32_e32 v54, vcc, 0, v45, vcc
	v_add_co_u32_e32 v55, vcc, 0x1000, v40
	v_addc_co_u32_e32 v56, vcc, 0, v45, vcc
	global_load_dwordx4 v[45:48], v[55:56], off offset:1888
	global_load_dwordx4 v[49:52], v[53:54], off offset:16
	v_lshlrev_b32_e32 v97, 1, v136
	v_add_u32_e32 v40, 0x226, v97
	v_lshlrev_b64 v[53:54], 4, v[40:41]
	s_movk_i32 s6, 0x1760
	v_add_co_u32_e32 v40, vcc, s8, v53
	v_addc_co_u32_e32 v53, vcc, v100, v54, vcc
	v_add_co_u32_e32 v57, vcc, s6, v40
	s_movk_i32 s4, 0x1000
	v_addc_co_u32_e32 v58, vcc, 0, v53, vcc
	v_add_co_u32_e32 v65, vcc, s4, v40
	v_addc_co_u32_e32 v66, vcc, 0, v53, vcc
	global_load_dwordx4 v[53:56], v[65:66], off offset:1888
	global_load_dwordx4 v[61:64], v[57:58], off offset:16
	v_lshlrev_b32_e32 v40, 1, v145
	v_lshlrev_b64 v[57:58], 4, v[40:41]
	ds_read_b64 v[81:82], v60 offset:2640
	v_add_co_u32_e32 v40, vcc, s8, v57
	v_addc_co_u32_e32 v59, vcc, v100, v58, vcc
	v_add_co_u32_e32 v57, vcc, s4, v40
	v_addc_co_u32_e32 v58, vcc, 0, v59, vcc
	global_load_dwordx4 v[65:68], v[57:58], off offset:1888
	v_add_co_u32_e32 v57, vcc, s6, v40
	v_addc_co_u32_e32 v58, vcc, 0, v59, vcc
	v_add_u32_e32 v93, 0x400, v60
	global_load_dwordx4 v[57:60], v[57:58], off offset:16
	v_add_u32_e32 v69, 0x1400, v137
	v_add_u32_e32 v73, 0x2000, v137
	ds_read2_b64 v[69:72], v69 offset0:75 offset1:130
	ds_read2_b64 v[73:76], v73 offset0:21 offset1:76
	v_add_u32_e32 v40, 0x1000, v137
	ds_read2_b64 v[77:80], v40 offset0:93 offset1:148
	v_lshlrev_b32_e32 v40, 1, v147
	v_lshlrev_b64 v[83:84], 4, v[40:41]
	v_lshlrev_b32_e32 v40, 1, v146
	v_lshlrev_b64 v[85:86], 4, v[40:41]
	v_add_co_u32_e32 v40, vcc, s8, v83
	v_addc_co_u32_e32 v92, vcc, v100, v84, vcc
	v_add_co_u32_e32 v83, vcc, s6, v40
	v_addc_co_u32_e32 v84, vcc, 0, v92, vcc
	;; [unrolled: 2-line block ×4, first 2 shown]
	s_mov_b32 s0, 0xe8584caa
	s_mov_b32 s1, 0xbfebb67a
	;; [unrolled: 1-line block ×4, first 2 shown]
	v_add_u32_e32 v119, 0x1800, v137
	s_movk_i32 s5, 0x2000
	s_waitcnt vmcnt(5)
	v_mul_f64 v[87:88], v[8:9], v[47:48]
	s_waitcnt vmcnt(4)
	v_mul_f64 v[89:90], v[38:39], v[51:52]
	s_waitcnt lgkmcnt(2)
	v_mul_f64 v[47:48], v[69:70], v[47:48]
	s_waitcnt lgkmcnt(1)
	v_mul_f64 v[51:52], v[75:76], v[51:52]
	v_fma_f64 v[69:70], v[69:70], v[45:46], -v[87:88]
	v_fma_f64 v[75:76], v[75:76], v[49:50], -v[89:90]
	v_fma_f64 v[8:9], v[8:9], v[45:46], v[47:48]
	v_fma_f64 v[38:39], v[38:39], v[49:50], v[51:52]
	global_load_dwordx4 v[45:48], v[91:92], off offset:1888
	global_load_dwordx4 v[49:52], v[83:84], off offset:16
	v_add_f64 v[83:84], v[69:70], v[75:76]
	s_waitcnt vmcnt(5)
	v_mul_f64 v[85:86], v[34:35], v[55:56]
	s_waitcnt vmcnt(4)
	v_mul_f64 v[87:88], v[36:37], v[63:64]
	v_add_f64 v[89:90], v[8:9], v[38:39]
	s_waitcnt lgkmcnt(0)
	v_mul_f64 v[55:56], v[79:80], v[55:56]
	v_mul_f64 v[63:64], v[73:74], v[63:64]
	v_fma_f64 v[91:92], v[79:80], v[53:54], -v[85:86]
	v_fma_f64 v[101:102], v[73:74], v[61:62], -v[87:88]
	v_add_f64 v[73:74], v[8:9], -v[38:39]
	v_add_f64 v[79:80], v[81:82], v[69:70]
	v_fma_f64 v[81:82], v[83:84], -0.5, v[81:82]
	v_fma_f64 v[87:88], v[89:90], -0.5, v[42:43]
	v_add_f64 v[8:9], v[42:43], v[8:9]
	v_add_co_u32_e32 v42, vcc, s6, v40
	v_addc_co_u32_e32 v43, vcc, 0, v94, vcc
	v_fma_f64 v[103:104], v[34:35], v[53:54], v[55:56]
	v_add_co_u32_e32 v53, vcc, s4, v40
	v_addc_co_u32_e32 v54, vcc, 0, v94, vcc
	v_add_f64 v[69:70], v[69:70], -v[75:76]
	v_fma_f64 v[105:106], v[36:37], v[61:62], v[63:64]
	v_add_f64 v[55:56], v[79:80], v[75:76]
	v_fma_f64 v[36:37], v[73:74], s[0:1], v[81:82]
	v_fma_f64 v[63:64], v[73:74], s[2:3], v[81:82]
	global_load_dwordx4 v[73:76], v[53:54], off offset:1888
	global_load_dwordx4 v[79:82], v[42:43], off offset:16
	v_add_f64 v[89:90], v[91:92], v[101:102]
	ds_read2_b64 v[83:86], v93 offset0:92 offset1:147
	v_lshlrev_b32_e32 v40, 1, v144
	s_waitcnt vmcnt(5)
	v_mul_f64 v[93:94], v[32:33], v[67:68]
	v_add_f64 v[53:54], v[8:9], v[38:39]
	v_fma_f64 v[34:35], v[69:70], s[2:3], v[87:88]
	v_fma_f64 v[61:62], v[69:70], s[0:1], v[87:88]
	s_waitcnt lgkmcnt(0)
	v_add_f64 v[107:108], v[85:86], v[91:92]
	v_fma_f64 v[8:9], v[89:90], -0.5, v[85:86]
	v_lshlrev_b64 v[89:90], 4, v[40:41]
	v_add_f64 v[109:110], v[91:92], -v[101:102]
	v_add_co_u32_e32 v40, vcc, s8, v89
	v_addc_co_u32_e32 v89, vcc, v100, v90, vcc
	v_add_co_u32_e32 v98, vcc, s6, v40
	v_addc_co_u32_e32 v99, vcc, 0, v89, vcc
	;; [unrolled: 2-line block ×3, first 2 shown]
	v_fma_f64 v[111:112], v[77:78], v[65:66], -v[93:94]
	ds_read2_b64 v[85:88], v119 offset0:167 offset1:222
	global_load_dwordx4 v[89:92], v[113:114], off offset:1888
	global_load_dwordx4 v[93:96], v[98:99], off offset:16
	s_waitcnt vmcnt(6)
	v_mul_f64 v[69:70], v[30:31], v[59:60]
	v_mov_b32_e32 v98, v41
	v_mul_f64 v[77:78], v[77:78], v[67:68]
	v_lshlrev_b64 v[67:68], 4, v[97:98]
	s_waitcnt lgkmcnt(0)
	v_mul_f64 v[59:60], v[87:88], v[59:60]
	v_add_co_u32_e32 v40, vcc, s8, v67
	v_addc_co_u32_e32 v67, vcc, v100, v68, vcc
	v_fma_f64 v[113:114], v[87:88], v[57:58], -v[69:70]
	v_add_co_u32_e32 v87, vcc, s6, v40
	v_addc_co_u32_e32 v88, vcc, 0, v67, vcc
	v_add_co_u32_e32 v115, vcc, s4, v40
	v_addc_co_u32_e32 v116, vcc, 0, v67, vcc
	global_load_dwordx4 v[67:70], v[115:116], off offset:1888
	global_load_dwordx4 v[97:100], v[87:88], off offset:16
	v_add_f64 v[42:43], v[103:104], v[105:106]
	v_add_f64 v[38:39], v[103:104], -v[105:106]
	v_add_f64 v[87:88], v[111:112], v[113:114]
	v_fma_f64 v[65:66], v[32:33], v[65:66], v[77:78]
	v_fma_f64 v[77:78], v[30:31], v[57:58], v[59:60]
	v_add_u32_e32 v40, 0xc00, v137
	s_waitcnt vmcnt(6)
	v_mul_f64 v[115:116], v[28:29], v[51:52]
	v_fma_f64 v[42:43], v[42:43], -0.5, v[26:27]
	v_add_f64 v[26:27], v[26:27], v[103:104]
	v_fma_f64 v[32:33], v[38:39], s[0:1], v[8:9]
	v_fma_f64 v[59:60], v[38:39], s[2:3], v[8:9]
	v_add_f64 v[103:104], v[107:108], v[101:102]
	v_fma_f64 v[8:9], v[87:88], -0.5, v[83:84]
	v_add_f64 v[38:39], v[65:66], -v[77:78]
	v_fma_f64 v[30:31], v[109:110], s[2:3], v[42:43]
	v_add_f64 v[101:102], v[26:27], v[105:106]
	v_add_f64 v[26:27], v[65:66], v[77:78]
	ds_read2_b64 v[105:108], v40 offset0:111 offset1:166
	v_fma_f64 v[57:58], v[109:110], s[0:1], v[42:43]
	v_add_f64 v[42:43], v[83:84], v[111:112]
	v_add_f64 v[83:84], v[111:112], -v[113:114]
	v_mul_f64 v[111:112], v[22:23], v[47:48]
	v_fma_f64 v[87:88], v[38:39], s[0:1], v[8:9]
	v_fma_f64 v[109:110], v[38:39], s[2:3], v[8:9]
	v_fma_f64 v[117:118], v[26:27], -0.5, v[24:25]
	s_waitcnt lgkmcnt(0)
	v_mul_f64 v[8:9], v[107:108], v[47:48]
	v_mul_f64 v[38:39], v[85:86], v[51:52]
	v_add_f64 v[26:27], v[42:43], v[113:114]
	v_fma_f64 v[51:52], v[85:86], v[49:50], -v[115:116]
	v_fma_f64 v[42:43], v[107:108], v[45:46], -v[111:112]
	v_add_u32_e32 v40, 0x800, v137
	v_fma_f64 v[85:86], v[83:84], s[2:3], v[117:118]
	v_fma_f64 v[107:108], v[83:84], s[0:1], v[117:118]
	s_waitcnt vmcnt(5)
	v_mul_f64 v[83:84], v[20:21], v[75:76]
	s_waitcnt vmcnt(4)
	v_mul_f64 v[111:112], v[18:19], v[81:82]
	v_fma_f64 v[8:9], v[22:23], v[45:46], v[8:9]
	v_fma_f64 v[28:29], v[28:29], v[49:50], v[38:39]
	ds_read2_b64 v[45:48], v119 offset0:57 offset1:112
	v_add_f64 v[49:50], v[24:25], v[65:66]
	ds_read2_b64 v[22:25], v137 offset0:110 offset1:165
	v_add_f64 v[38:39], v[42:43], v[51:52]
	v_fma_f64 v[65:66], v[105:106], v[73:74], -v[83:84]
	s_waitcnt lgkmcnt(1)
	v_fma_f64 v[83:84], v[47:48], v[79:80], -v[111:112]
	v_mul_f64 v[47:48], v[47:48], v[81:82]
	v_add_f64 v[81:82], v[8:9], v[28:29]
	v_mul_f64 v[75:76], v[105:106], v[75:76]
	s_waitcnt lgkmcnt(0)
	v_add_f64 v[111:112], v[24:25], v[42:43]
	v_add_f64 v[42:43], v[42:43], -v[51:52]
	v_fma_f64 v[38:39], v[38:39], -0.5, v[24:25]
	v_add_f64 v[105:106], v[8:9], -v[28:29]
	v_add_f64 v[113:114], v[65:66], v[83:84]
	v_fma_f64 v[117:118], v[18:19], v[79:80], v[47:48]
	v_fma_f64 v[47:48], v[81:82], -0.5, v[14:15]
	v_fma_f64 v[115:116], v[20:21], v[73:74], v[75:76]
	v_add_f64 v[75:76], v[111:112], v[51:52]
	v_add_f64 v[8:9], v[14:15], v[8:9]
	;; [unrolled: 1-line block ×3, first 2 shown]
	s_waitcnt vmcnt(2)
	v_mul_f64 v[51:52], v[16:17], v[95:96]
	ds_read2_b64 v[77:80], v40 offset0:129 offset1:184
	v_fma_f64 v[20:21], v[105:106], s[0:1], v[38:39]
	v_fma_f64 v[18:19], v[42:43], s[2:3], v[47:48]
	v_fma_f64 v[47:48], v[42:43], s[0:1], v[47:48]
	v_mul_f64 v[42:43], v[6:7], v[91:92]
	v_fma_f64 v[49:50], v[105:106], s[2:3], v[38:39]
	v_fma_f64 v[14:15], v[113:114], -0.5, v[22:23]
	v_add_f64 v[38:39], v[115:116], -v[117:118]
	v_add_f64 v[73:74], v[8:9], v[28:29]
	v_add_f64 v[28:29], v[115:116], v[117:118]
	;; [unrolled: 1-line block ×3, first 2 shown]
	v_fma_f64 v[51:52], v[45:46], v[93:94], -v[51:52]
	s_waitcnt lgkmcnt(0)
	v_fma_f64 v[42:43], v[79:80], v[89:90], -v[42:43]
	v_mul_f64 v[91:92], v[79:80], v[91:92]
	v_mul_f64 v[45:46], v[45:46], v[95:96]
	v_fma_f64 v[8:9], v[38:39], s[0:1], v[14:15]
	v_fma_f64 v[14:15], v[38:39], s[2:3], v[14:15]
	v_add_f64 v[38:39], v[65:66], -v[83:84]
	v_fma_f64 v[28:29], v[28:29], -0.5, v[12:13]
	v_add_f64 v[79:80], v[22:23], v[83:84]
	v_add_f64 v[22:23], v[42:43], v[51:52]
	v_fma_f64 v[65:66], v[6:7], v[89:90], v[91:92]
	s_waitcnt vmcnt(1)
	v_mul_f64 v[89:90], v[4:5], v[69:70]
	s_waitcnt vmcnt(0)
	v_mul_f64 v[91:92], v[10:11], v[99:100]
	v_fma_f64 v[16:17], v[16:17], v[93:94], v[45:46]
	v_mul_f64 v[45:46], v[77:78], v[69:70]
	v_mul_f64 v[69:70], v[71:72], v[99:100]
	ds_read2_b64 v[81:84], v137 offset1:55
	v_fma_f64 v[6:7], v[38:39], s[2:3], v[28:29]
	v_add_f64 v[93:94], v[12:13], v[115:116]
	v_fma_f64 v[12:13], v[38:39], s[0:1], v[28:29]
	v_fma_f64 v[95:96], v[71:72], v[97:98], -v[91:92]
	s_waitcnt lgkmcnt(0)
	v_fma_f64 v[22:23], v[22:23], -0.5, v[83:84]
	v_add_f64 v[71:72], v[65:66], -v[16:17]
	v_fma_f64 v[28:29], v[4:5], v[67:68], v[45:46]
	v_fma_f64 v[10:11], v[10:11], v[97:98], v[69:70]
	v_fma_f64 v[89:90], v[77:78], v[67:68], -v[89:90]
	v_add_f64 v[38:39], v[65:66], v[16:17]
	v_add_f64 v[45:46], v[83:84], v[42:43]
	;; [unrolled: 1-line block ×3, first 2 shown]
	v_mov_b32_e32 v137, v41
	v_fma_f64 v[4:5], v[71:72], s[0:1], v[22:23]
	v_fma_f64 v[67:68], v[71:72], s[2:3], v[22:23]
	v_add_f64 v[22:23], v[42:43], -v[51:52]
	v_add_f64 v[42:43], v[28:29], v[10:11]
	v_add_f64 v[69:70], v[89:90], v[95:96]
	v_fma_f64 v[38:39], v[38:39], -0.5, v[2:3]
	v_add_f64 v[71:72], v[45:46], v[51:52]
	v_add_f64 v[91:92], v[28:29], -v[10:11]
	v_add_f64 v[45:46], v[2:3], v[65:66]
	v_fma_f64 v[42:43], v[42:43], -0.5, v[0:1]
	v_add_f64 v[0:1], v[0:1], v[28:29]
	v_fma_f64 v[51:52], v[69:70], -0.5, v[81:82]
	v_add_f64 v[81:82], v[81:82], v[89:90]
	v_add_f64 v[89:90], v[89:90], -v[95:96]
	v_fma_f64 v[2:3], v[22:23], s[2:3], v[38:39]
	v_fma_f64 v[65:66], v[22:23], s[0:1], v[38:39]
	v_add_co_u32_e32 v22, vcc, s12, v138
	v_add_f64 v[93:94], v[0:1], v[10:11]
	v_mov_b32_e32 v0, s13
	v_fma_f64 v[83:84], v[91:92], s[0:1], v[51:52]
	v_fma_f64 v[91:92], v[91:92], s[2:3], v[51:52]
	v_add_f64 v[95:96], v[81:82], v[95:96]
	v_fma_f64 v[81:82], v[89:90], s[2:3], v[42:43]
	v_fma_f64 v[89:90], v[89:90], s[0:1], v[42:43]
	v_addc_co_u32_e32 v23, vcc, v0, v139, vcc
	v_lshlrev_b64 v[0:1], 4, v[136:137]
	v_add_f64 v[69:70], v[45:46], v[16:17]
	v_add_co_u32_e32 v0, vcc, v22, v0
	v_addc_co_u32_e32 v1, vcc, v23, v1, vcc
	v_add_co_u32_e32 v10, vcc, s4, v0
	v_addc_co_u32_e32 v11, vcc, 0, v1, vcc
	s_movk_i32 s0, 0x3000
	v_add_co_u32_e32 v16, vcc, s0, v0
	v_addc_co_u32_e32 v17, vcc, 0, v1, vcc
	s_mov_b32 s1, 0x551c979b
	global_store_dwordx4 v[0:1], v[93:96], off
	global_store_dwordx4 v[10:11], v[89:92], off offset:2064
	global_store_dwordx4 v[16:17], v[81:84], off offset:32
	global_store_dwordx4 v[0:1], v[69:72], off offset:880
	global_store_dwordx4 v[10:11], v[65:68], off offset:2944
	global_store_dwordx4 v[16:17], v[2:5], off offset:912
	global_store_dwordx4 v[0:1], v[77:80], off offset:1760
	global_store_dwordx4 v[10:11], v[12:15], off offset:3824
	global_store_dwordx4 v[16:17], v[6:9], off offset:1792
	global_store_dwordx4 v[0:1], v[73:76], off offset:2640
	v_mul_hi_u32 v4, v145, s1
	v_add_co_u32_e32 v2, vcc, s5, v0
	v_addc_co_u32_e32 v3, vcc, 0, v1, vcc
	v_lshrrev_b32_e32 v4, 7, v4
	v_mul_u32_u24_e32 v40, 0x302, v4
	v_lshlrev_b64 v[4:5], 4, v[40:41]
	global_store_dwordx4 v[2:3], v[47:50], off offset:608
	global_store_dwordx4 v[16:17], v[18:21], off offset:2672
	v_add_co_u32_e32 v4, vcc, v0, v4
	v_addc_co_u32_e32 v5, vcc, v1, v5, vcc
	v_add_co_u32_e32 v6, vcc, s5, v4
	v_addc_co_u32_e32 v7, vcc, 0, v5, vcc
	global_store_dwordx4 v[4:5], v[24:27], off offset:3520
	v_add_co_u32_e32 v4, vcc, s0, v4
	v_addc_co_u32_e32 v5, vcc, 0, v5, vcc
	global_store_dwordx4 v[6:7], v[107:110], off offset:1488
	global_store_dwordx4 v[4:5], v[85:88], off offset:3552
	;; [unrolled: 1-line block ×4, first 2 shown]
	v_mul_hi_u32 v2, v44, s1
	s_movk_i32 s0, 0x4000
	v_add_co_u32_e32 v0, vcc, s0, v0
	v_addc_co_u32_e32 v1, vcc, 0, v1, vcc
	s_movk_i32 s2, 0x302
	global_store_dwordx4 v[0:1], v[30:33], off offset:336
	v_lshrrev_b32_e32 v0, 7, v2
	v_mad_u32_u24 v40, v0, s2, v44
	v_lshlrev_b64 v[0:1], 4, v[40:41]
	v_add_co_u32_e32 v0, vcc, v22, v0
	v_addc_co_u32_e32 v1, vcc, v23, v1, vcc
	v_add_co_u32_e32 v2, vcc, 0x1000, v0
	v_addc_co_u32_e32 v3, vcc, 0, v1, vcc
	global_store_dwordx4 v[0:1], v[53:56], off
	v_add_co_u32_e32 v0, vcc, 0x3000, v0
	v_addc_co_u32_e32 v1, vcc, 0, v1, vcc
	global_store_dwordx4 v[2:3], v[61:64], off offset:2064
	global_store_dwordx4 v[0:1], v[34:37], off offset:32
.LBB0_27:
	s_endpgm
	.section	.rodata,"a",@progbits
	.p2align	6, 0x0
	.amdhsa_kernel fft_rtc_back_len1155_factors_11_5_7_3_wgs_55_tpt_55_halfLds_dp_ip_CI_unitstride_sbrr_dirReg
		.amdhsa_group_segment_fixed_size 0
		.amdhsa_private_segment_fixed_size 0
		.amdhsa_kernarg_size 88
		.amdhsa_user_sgpr_count 6
		.amdhsa_user_sgpr_private_segment_buffer 1
		.amdhsa_user_sgpr_dispatch_ptr 0
		.amdhsa_user_sgpr_queue_ptr 0
		.amdhsa_user_sgpr_kernarg_segment_ptr 1
		.amdhsa_user_sgpr_dispatch_id 0
		.amdhsa_user_sgpr_flat_scratch_init 0
		.amdhsa_user_sgpr_private_segment_size 0
		.amdhsa_uses_dynamic_stack 0
		.amdhsa_system_sgpr_private_segment_wavefront_offset 0
		.amdhsa_system_sgpr_workgroup_id_x 1
		.amdhsa_system_sgpr_workgroup_id_y 0
		.amdhsa_system_sgpr_workgroup_id_z 0
		.amdhsa_system_sgpr_workgroup_info 0
		.amdhsa_system_vgpr_workitem_id 0
		.amdhsa_next_free_vgpr 223
		.amdhsa_next_free_sgpr 42
		.amdhsa_reserve_vcc 1
		.amdhsa_reserve_flat_scratch 0
		.amdhsa_float_round_mode_32 0
		.amdhsa_float_round_mode_16_64 0
		.amdhsa_float_denorm_mode_32 3
		.amdhsa_float_denorm_mode_16_64 3
		.amdhsa_dx10_clamp 1
		.amdhsa_ieee_mode 1
		.amdhsa_fp16_overflow 0
		.amdhsa_exception_fp_ieee_invalid_op 0
		.amdhsa_exception_fp_denorm_src 0
		.amdhsa_exception_fp_ieee_div_zero 0
		.amdhsa_exception_fp_ieee_overflow 0
		.amdhsa_exception_fp_ieee_underflow 0
		.amdhsa_exception_fp_ieee_inexact 0
		.amdhsa_exception_int_div_zero 0
	.end_amdhsa_kernel
	.text
.Lfunc_end0:
	.size	fft_rtc_back_len1155_factors_11_5_7_3_wgs_55_tpt_55_halfLds_dp_ip_CI_unitstride_sbrr_dirReg, .Lfunc_end0-fft_rtc_back_len1155_factors_11_5_7_3_wgs_55_tpt_55_halfLds_dp_ip_CI_unitstride_sbrr_dirReg
                                        ; -- End function
	.section	.AMDGPU.csdata,"",@progbits
; Kernel info:
; codeLenInByte = 16960
; NumSgprs: 46
; NumVgprs: 223
; ScratchSize: 0
; MemoryBound: 1
; FloatMode: 240
; IeeeMode: 1
; LDSByteSize: 0 bytes/workgroup (compile time only)
; SGPRBlocks: 5
; VGPRBlocks: 55
; NumSGPRsForWavesPerEU: 46
; NumVGPRsForWavesPerEU: 223
; Occupancy: 1
; WaveLimiterHint : 1
; COMPUTE_PGM_RSRC2:SCRATCH_EN: 0
; COMPUTE_PGM_RSRC2:USER_SGPR: 6
; COMPUTE_PGM_RSRC2:TRAP_HANDLER: 0
; COMPUTE_PGM_RSRC2:TGID_X_EN: 1
; COMPUTE_PGM_RSRC2:TGID_Y_EN: 0
; COMPUTE_PGM_RSRC2:TGID_Z_EN: 0
; COMPUTE_PGM_RSRC2:TIDIG_COMP_CNT: 0
	.type	__hip_cuid_2fc295e5fefacaf3,@object ; @__hip_cuid_2fc295e5fefacaf3
	.section	.bss,"aw",@nobits
	.globl	__hip_cuid_2fc295e5fefacaf3
__hip_cuid_2fc295e5fefacaf3:
	.byte	0                               ; 0x0
	.size	__hip_cuid_2fc295e5fefacaf3, 1

	.ident	"AMD clang version 19.0.0git (https://github.com/RadeonOpenCompute/llvm-project roc-6.4.0 25133 c7fe45cf4b819c5991fe208aaa96edf142730f1d)"
	.section	".note.GNU-stack","",@progbits
	.addrsig
	.addrsig_sym __hip_cuid_2fc295e5fefacaf3
	.amdgpu_metadata
---
amdhsa.kernels:
  - .args:
      - .actual_access:  read_only
        .address_space:  global
        .offset:         0
        .size:           8
        .value_kind:     global_buffer
      - .offset:         8
        .size:           8
        .value_kind:     by_value
      - .actual_access:  read_only
        .address_space:  global
        .offset:         16
        .size:           8
        .value_kind:     global_buffer
      - .actual_access:  read_only
        .address_space:  global
        .offset:         24
        .size:           8
        .value_kind:     global_buffer
      - .offset:         32
        .size:           8
        .value_kind:     by_value
      - .actual_access:  read_only
        .address_space:  global
        .offset:         40
        .size:           8
        .value_kind:     global_buffer
      - .actual_access:  read_only
        .address_space:  global
        .offset:         48
        .size:           8
        .value_kind:     global_buffer
      - .offset:         56
        .size:           4
        .value_kind:     by_value
      - .actual_access:  read_only
        .address_space:  global
        .offset:         64
        .size:           8
        .value_kind:     global_buffer
      - .actual_access:  read_only
        .address_space:  global
        .offset:         72
        .size:           8
        .value_kind:     global_buffer
      - .address_space:  global
        .offset:         80
        .size:           8
        .value_kind:     global_buffer
    .group_segment_fixed_size: 0
    .kernarg_segment_align: 8
    .kernarg_segment_size: 88
    .language:       OpenCL C
    .language_version:
      - 2
      - 0
    .max_flat_workgroup_size: 55
    .name:           fft_rtc_back_len1155_factors_11_5_7_3_wgs_55_tpt_55_halfLds_dp_ip_CI_unitstride_sbrr_dirReg
    .private_segment_fixed_size: 0
    .sgpr_count:     46
    .sgpr_spill_count: 0
    .symbol:         fft_rtc_back_len1155_factors_11_5_7_3_wgs_55_tpt_55_halfLds_dp_ip_CI_unitstride_sbrr_dirReg.kd
    .uniform_work_group_size: 1
    .uses_dynamic_stack: false
    .vgpr_count:     223
    .vgpr_spill_count: 0
    .wavefront_size: 64
amdhsa.target:   amdgcn-amd-amdhsa--gfx906
amdhsa.version:
  - 1
  - 2
...

	.end_amdgpu_metadata
